;; amdgpu-corpus repo=ROCm/rocFFT kind=compiled arch=gfx1030 opt=O3
	.text
	.amdgcn_target "amdgcn-amd-amdhsa--gfx1030"
	.amdhsa_code_object_version 6
	.protected	fft_rtc_back_len3645_factors_5_3_3_3_3_3_3_wgs_243_tpt_243_halfLds_half_ip_CI_sbrr_dirReg ; -- Begin function fft_rtc_back_len3645_factors_5_3_3_3_3_3_3_wgs_243_tpt_243_halfLds_half_ip_CI_sbrr_dirReg
	.globl	fft_rtc_back_len3645_factors_5_3_3_3_3_3_3_wgs_243_tpt_243_halfLds_half_ip_CI_sbrr_dirReg
	.p2align	8
	.type	fft_rtc_back_len3645_factors_5_3_3_3_3_3_3_wgs_243_tpt_243_halfLds_half_ip_CI_sbrr_dirReg,@function
fft_rtc_back_len3645_factors_5_3_3_3_3_3_3_wgs_243_tpt_243_halfLds_half_ip_CI_sbrr_dirReg: ; @fft_rtc_back_len3645_factors_5_3_3_3_3_3_3_wgs_243_tpt_243_halfLds_half_ip_CI_sbrr_dirReg
; %bb.0:
	s_clause 0x2
	s_load_dwordx2 s[14:15], s[4:5], 0x18
	s_load_dwordx4 s[8:11], s[4:5], 0x0
	s_load_dwordx2 s[12:13], s[4:5], 0x50
	v_mul_u32_u24_e32 v1, 0x10e, v0
	v_mov_b32_e32 v3, 0
	v_add_nc_u32_sdwa v5, s6, v1 dst_sel:DWORD dst_unused:UNUSED_PAD src0_sel:DWORD src1_sel:WORD_1
	v_mov_b32_e32 v1, 0
	v_mov_b32_e32 v6, v3
	v_mov_b32_e32 v2, 0
	s_waitcnt lgkmcnt(0)
	s_load_dwordx2 s[2:3], s[14:15], 0x0
	v_cmp_lt_u64_e64 s0, s[10:11], 2
	s_and_b32 vcc_lo, exec_lo, s0
	s_cbranch_vccnz .LBB0_8
; %bb.1:
	s_load_dwordx2 s[0:1], s[4:5], 0x10
	v_mov_b32_e32 v1, 0
	s_add_u32 s6, s14, 8
	v_mov_b32_e32 v2, 0
	s_addc_u32 s7, s15, 0
	s_mov_b64 s[18:19], 1
	s_waitcnt lgkmcnt(0)
	s_add_u32 s16, s0, 8
	s_addc_u32 s17, s1, 0
.LBB0_2:                                ; =>This Inner Loop Header: Depth=1
	s_load_dwordx2 s[20:21], s[16:17], 0x0
                                        ; implicit-def: $vgpr7_vgpr8
	s_mov_b32 s0, exec_lo
	s_waitcnt lgkmcnt(0)
	v_or_b32_e32 v4, s21, v6
	v_cmpx_ne_u64_e32 0, v[3:4]
	s_xor_b32 s1, exec_lo, s0
	s_cbranch_execz .LBB0_4
; %bb.3:                                ;   in Loop: Header=BB0_2 Depth=1
	v_cvt_f32_u32_e32 v4, s20
	v_cvt_f32_u32_e32 v7, s21
	s_sub_u32 s0, 0, s20
	s_subb_u32 s22, 0, s21
	v_fmac_f32_e32 v4, 0x4f800000, v7
	v_rcp_f32_e32 v4, v4
	v_mul_f32_e32 v4, 0x5f7ffffc, v4
	v_mul_f32_e32 v7, 0x2f800000, v4
	v_trunc_f32_e32 v7, v7
	v_fmac_f32_e32 v4, 0xcf800000, v7
	v_cvt_u32_f32_e32 v7, v7
	v_cvt_u32_f32_e32 v4, v4
	v_mul_lo_u32 v8, s0, v7
	v_mul_hi_u32 v9, s0, v4
	v_mul_lo_u32 v10, s22, v4
	v_add_nc_u32_e32 v8, v9, v8
	v_mul_lo_u32 v9, s0, v4
	v_add_nc_u32_e32 v8, v8, v10
	v_mul_hi_u32 v10, v4, v9
	v_mul_lo_u32 v11, v4, v8
	v_mul_hi_u32 v12, v4, v8
	v_mul_hi_u32 v13, v7, v9
	v_mul_lo_u32 v9, v7, v9
	v_mul_hi_u32 v14, v7, v8
	v_mul_lo_u32 v8, v7, v8
	v_add_co_u32 v10, vcc_lo, v10, v11
	v_add_co_ci_u32_e32 v11, vcc_lo, 0, v12, vcc_lo
	v_add_co_u32 v9, vcc_lo, v10, v9
	v_add_co_ci_u32_e32 v9, vcc_lo, v11, v13, vcc_lo
	v_add_co_ci_u32_e32 v10, vcc_lo, 0, v14, vcc_lo
	v_add_co_u32 v8, vcc_lo, v9, v8
	v_add_co_ci_u32_e32 v9, vcc_lo, 0, v10, vcc_lo
	v_add_co_u32 v4, vcc_lo, v4, v8
	v_add_co_ci_u32_e32 v7, vcc_lo, v7, v9, vcc_lo
	v_mul_hi_u32 v8, s0, v4
	v_mul_lo_u32 v10, s22, v4
	v_mul_lo_u32 v9, s0, v7
	v_add_nc_u32_e32 v8, v8, v9
	v_mul_lo_u32 v9, s0, v4
	v_add_nc_u32_e32 v8, v8, v10
	v_mul_hi_u32 v10, v4, v9
	v_mul_lo_u32 v11, v4, v8
	v_mul_hi_u32 v12, v4, v8
	v_mul_hi_u32 v13, v7, v9
	v_mul_lo_u32 v9, v7, v9
	v_mul_hi_u32 v14, v7, v8
	v_mul_lo_u32 v8, v7, v8
	v_add_co_u32 v10, vcc_lo, v10, v11
	v_add_co_ci_u32_e32 v11, vcc_lo, 0, v12, vcc_lo
	v_add_co_u32 v9, vcc_lo, v10, v9
	v_add_co_ci_u32_e32 v9, vcc_lo, v11, v13, vcc_lo
	v_add_co_ci_u32_e32 v10, vcc_lo, 0, v14, vcc_lo
	v_add_co_u32 v8, vcc_lo, v9, v8
	v_add_co_ci_u32_e32 v9, vcc_lo, 0, v10, vcc_lo
	v_add_co_u32 v4, vcc_lo, v4, v8
	v_add_co_ci_u32_e32 v11, vcc_lo, v7, v9, vcc_lo
	v_mul_hi_u32 v13, v5, v4
	v_mad_u64_u32 v[9:10], null, v6, v4, 0
	v_mad_u64_u32 v[7:8], null, v5, v11, 0
	;; [unrolled: 1-line block ×3, first 2 shown]
	v_add_co_u32 v4, vcc_lo, v13, v7
	v_add_co_ci_u32_e32 v7, vcc_lo, 0, v8, vcc_lo
	v_add_co_u32 v4, vcc_lo, v4, v9
	v_add_co_ci_u32_e32 v4, vcc_lo, v7, v10, vcc_lo
	v_add_co_ci_u32_e32 v7, vcc_lo, 0, v12, vcc_lo
	v_add_co_u32 v4, vcc_lo, v4, v11
	v_add_co_ci_u32_e32 v9, vcc_lo, 0, v7, vcc_lo
	v_mul_lo_u32 v10, s21, v4
	v_mad_u64_u32 v[7:8], null, s20, v4, 0
	v_mul_lo_u32 v11, s20, v9
	v_sub_co_u32 v7, vcc_lo, v5, v7
	v_add3_u32 v8, v8, v11, v10
	v_sub_nc_u32_e32 v10, v6, v8
	v_subrev_co_ci_u32_e64 v10, s0, s21, v10, vcc_lo
	v_add_co_u32 v11, s0, v4, 2
	v_add_co_ci_u32_e64 v12, s0, 0, v9, s0
	v_sub_co_u32 v13, s0, v7, s20
	v_sub_co_ci_u32_e32 v8, vcc_lo, v6, v8, vcc_lo
	v_subrev_co_ci_u32_e64 v10, s0, 0, v10, s0
	v_cmp_le_u32_e32 vcc_lo, s20, v13
	v_cmp_eq_u32_e64 s0, s21, v8
	v_cndmask_b32_e64 v13, 0, -1, vcc_lo
	v_cmp_le_u32_e32 vcc_lo, s21, v10
	v_cndmask_b32_e64 v14, 0, -1, vcc_lo
	v_cmp_le_u32_e32 vcc_lo, s20, v7
	;; [unrolled: 2-line block ×3, first 2 shown]
	v_cndmask_b32_e64 v15, 0, -1, vcc_lo
	v_cmp_eq_u32_e32 vcc_lo, s21, v10
	v_cndmask_b32_e64 v7, v15, v7, s0
	v_cndmask_b32_e32 v10, v14, v13, vcc_lo
	v_add_co_u32 v13, vcc_lo, v4, 1
	v_add_co_ci_u32_e32 v14, vcc_lo, 0, v9, vcc_lo
	v_cmp_ne_u32_e32 vcc_lo, 0, v10
	v_cndmask_b32_e32 v8, v14, v12, vcc_lo
	v_cndmask_b32_e32 v10, v13, v11, vcc_lo
	v_cmp_ne_u32_e32 vcc_lo, 0, v7
	v_cndmask_b32_e32 v8, v9, v8, vcc_lo
	v_cndmask_b32_e32 v7, v4, v10, vcc_lo
.LBB0_4:                                ;   in Loop: Header=BB0_2 Depth=1
	s_andn2_saveexec_b32 s0, s1
	s_cbranch_execz .LBB0_6
; %bb.5:                                ;   in Loop: Header=BB0_2 Depth=1
	v_cvt_f32_u32_e32 v4, s20
	s_sub_i32 s1, 0, s20
	v_rcp_iflag_f32_e32 v4, v4
	v_mul_f32_e32 v4, 0x4f7ffffe, v4
	v_cvt_u32_f32_e32 v4, v4
	v_mul_lo_u32 v7, s1, v4
	v_mul_hi_u32 v7, v4, v7
	v_add_nc_u32_e32 v4, v4, v7
	v_mul_hi_u32 v4, v5, v4
	v_mul_lo_u32 v7, v4, s20
	v_add_nc_u32_e32 v8, 1, v4
	v_sub_nc_u32_e32 v7, v5, v7
	v_subrev_nc_u32_e32 v9, s20, v7
	v_cmp_le_u32_e32 vcc_lo, s20, v7
	v_cndmask_b32_e32 v7, v7, v9, vcc_lo
	v_cndmask_b32_e32 v4, v4, v8, vcc_lo
	v_cmp_le_u32_e32 vcc_lo, s20, v7
	v_add_nc_u32_e32 v8, 1, v4
	v_cndmask_b32_e32 v7, v4, v8, vcc_lo
	v_mov_b32_e32 v8, v3
.LBB0_6:                                ;   in Loop: Header=BB0_2 Depth=1
	s_or_b32 exec_lo, exec_lo, s0
	s_load_dwordx2 s[0:1], s[6:7], 0x0
	v_mul_lo_u32 v4, v8, s20
	v_mul_lo_u32 v11, v7, s21
	v_mad_u64_u32 v[9:10], null, v7, s20, 0
	s_add_u32 s18, s18, 1
	s_addc_u32 s19, s19, 0
	s_add_u32 s6, s6, 8
	s_addc_u32 s7, s7, 0
	;; [unrolled: 2-line block ×3, first 2 shown]
	v_add3_u32 v4, v10, v11, v4
	v_sub_co_u32 v5, vcc_lo, v5, v9
	v_sub_co_ci_u32_e32 v4, vcc_lo, v6, v4, vcc_lo
	s_waitcnt lgkmcnt(0)
	v_mul_lo_u32 v6, s1, v5
	v_mul_lo_u32 v4, s0, v4
	v_mad_u64_u32 v[1:2], null, s0, v5, v[1:2]
	v_cmp_ge_u64_e64 s0, s[18:19], s[10:11]
	s_and_b32 vcc_lo, exec_lo, s0
	v_add3_u32 v2, v6, v2, v4
	s_cbranch_vccnz .LBB0_9
; %bb.7:                                ;   in Loop: Header=BB0_2 Depth=1
	v_mov_b32_e32 v5, v7
	v_mov_b32_e32 v6, v8
	s_branch .LBB0_2
.LBB0_8:
	v_mov_b32_e32 v8, v6
	v_mov_b32_e32 v7, v5
.LBB0_9:
	s_lshl_b64 s[0:1], s[10:11], 3
	v_mul_hi_u32 v3, 0x10db20b, v0
	s_add_u32 s0, s14, s0
	s_addc_u32 s1, s15, s1
	s_load_dwordx2 s[4:5], s[4:5], 0x20
	s_load_dwordx2 s[0:1], s[0:1], 0x0
                                        ; implicit-def: $vgpr31
                                        ; implicit-def: $vgpr32
                                        ; implicit-def: $vgpr33
                                        ; implicit-def: $vgpr34
	v_mul_u32_u24_e32 v3, 0xf3, v3
	v_sub_nc_u32_e32 v22, v0, v3
	v_add_nc_u32_e32 v23, 0xf3, v22
	v_add_nc_u32_e32 v20, 0x1e6, v22
	;; [unrolled: 1-line block ×4, first 2 shown]
	s_waitcnt lgkmcnt(0)
	v_cmp_gt_u64_e32 vcc_lo, s[4:5], v[7:8]
	v_mul_lo_u32 v3, s0, v8
	v_mul_lo_u32 v4, s1, v7
	v_mad_u64_u32 v[0:1], null, s0, v7, v[1:2]
	v_cmp_le_u64_e64 s0, s[4:5], v[7:8]
	v_add3_u32 v1, v4, v1, v3
	s_and_saveexec_b32 s1, s0
	s_xor_b32 s0, exec_lo, s1
; %bb.10:
	v_add_nc_u32_e32 v31, 0xf3, v22
	v_add_nc_u32_e32 v32, 0x1e6, v22
	;; [unrolled: 1-line block ×4, first 2 shown]
; %bb.11:
	s_or_saveexec_b32 s1, s0
	v_lshlrev_b64 v[0:1], 2, v[0:1]
	v_add_nc_u32_e32 v27, 0x5b2, v22
	v_add_nc_u32_e32 v24, 0xb64, v22
	;; [unrolled: 1-line block ×8, first 2 shown]
                                        ; implicit-def: $vgpr13
                                        ; implicit-def: $vgpr15
                                        ; implicit-def: $vgpr10
                                        ; implicit-def: $vgpr5
                                        ; implicit-def: $vgpr11
                                        ; implicit-def: $vgpr6
                                        ; implicit-def: $vgpr12
                                        ; implicit-def: $vgpr14
                                        ; implicit-def: $vgpr7
                                        ; implicit-def: $vgpr3
                                        ; implicit-def: $vgpr36
                                        ; implicit-def: $vgpr39
                                        ; implicit-def: $vgpr37
                                        ; implicit-def: $vgpr35
                                        ; implicit-def: $vgpr40
                                        ; implicit-def: $vgpr38
                                        ; implicit-def: $vgpr41
                                        ; implicit-def: $vgpr42
                                        ; implicit-def: $vgpr8
                                        ; implicit-def: $vgpr4
                                        ; implicit-def: $vgpr45
                                        ; implicit-def: $vgpr48
                                        ; implicit-def: $vgpr46
                                        ; implicit-def: $vgpr47
                                        ; implicit-def: $vgpr43
                                        ; implicit-def: $vgpr16
                                        ; implicit-def: $vgpr44
                                        ; implicit-def: $vgpr17
                                        ; implicit-def: $vgpr9
                                        ; implicit-def: $vgpr2
	s_xor_b32 exec_lo, exec_lo, s1
	s_cbranch_execz .LBB0_13
; %bb.12:
	v_mad_u64_u32 v[2:3], null, s2, v22, 0
	v_mad_u64_u32 v[4:5], null, s2, v19, 0
	;; [unrolled: 1-line block ×3, first 2 shown]
	v_add_nc_u32_e32 v14, 0x88b, v22
	v_mad_u64_u32 v[12:13], null, s2, v24, 0
	v_add_co_u32 v48, s0, s12, v0
	v_mad_u64_u32 v[8:9], null, s3, v22, v[3:4]
	v_mad_u64_u32 v[9:10], null, s3, v19, v[5:6]
	;; [unrolled: 1-line block ×3, first 2 shown]
	v_mov_b32_e32 v5, v7
	v_add_co_ci_u32_e64 v49, s0, s13, v1, s0
	v_mov_b32_e32 v3, v8
	v_mad_u64_u32 v[31:32], null, s2, v21, 0
	v_mad_u64_u32 v[7:8], null, s3, v27, v[5:6]
	v_mov_b32_e32 v5, v9
	v_mov_b32_e32 v8, v11
	v_lshlrev_b64 v[2:3], 2, v[2:3]
	v_mad_u64_u32 v[38:39], null, s2, v26, 0
	v_lshlrev_b64 v[4:5], 2, v[4:5]
	v_mad_u64_u32 v[8:9], null, s3, v14, v[8:9]
	v_add_co_u32 v2, s0, v48, v2
	v_lshlrev_b64 v[6:7], 2, v[6:7]
	v_mov_b32_e32 v9, v13
	v_mad_u64_u32 v[14:15], null, s2, v23, 0
	v_add_co_ci_u32_e64 v3, s0, v49, v3, s0
	v_add_co_u32 v4, s0, v48, v4
	v_add_co_ci_u32_e64 v5, s0, v49, v5, s0
	v_mov_b32_e32 v11, v8
	v_mad_u64_u32 v[8:9], null, s3, v24, v[9:10]
	v_add_co_u32 v6, s0, v48, v6
	v_add_co_ci_u32_e64 v7, s0, v49, v7, s0
	v_mov_b32_e32 v9, v15
	s_clause 0x2
	global_load_dword v2, v[2:3], off
	global_load_dword v17, v[4:5], off
	;; [unrolled: 1-line block ×3, first 2 shown]
	v_lshlrev_b64 v[3:4], 2, v[10:11]
	v_mov_b32_e32 v13, v8
	v_mad_u64_u32 v[7:8], null, s2, v25, 0
	v_mad_u64_u32 v[5:6], null, s3, v23, v[9:10]
	v_mov_b32_e32 v6, v32
	v_add_co_u32 v9, s0, v48, v3
	v_add_co_ci_u32_e64 v10, s0, v49, v4, s0
	v_lshlrev_b64 v[3:4], 2, v[12:13]
	v_mov_b32_e32 v15, v5
	v_mad_u64_u32 v[5:6], null, s3, v21, v[6:7]
	v_mov_b32_e32 v6, v8
	v_mad_u64_u32 v[11:12], null, s2, v28, 0
	v_add_co_u32 v33, s0, v48, v3
	v_add_co_ci_u32_e64 v34, s0, v49, v4, s0
	v_lshlrev_b64 v[3:4], 2, v[14:15]
	v_mov_b32_e32 v32, v5
	v_mad_u64_u32 v[5:6], null, s3, v25, v[6:7]
	v_mad_u64_u32 v[13:14], null, s2, v18, 0
	v_mov_b32_e32 v6, v12
	v_add_co_u32 v36, s0, v48, v3
	v_add_co_ci_u32_e64 v37, s0, v49, v4, s0
	v_lshlrev_b64 v[3:4], 2, v[31:32]
	v_mov_b32_e32 v8, v5
	v_mad_u64_u32 v[5:6], null, s3, v28, v[6:7]
	v_mov_b32_e32 v6, v14
	v_mad_u64_u32 v[42:43], null, s2, v29, 0
	v_add_co_u32 v31, s0, v48, v3
	v_add_co_ci_u32_e64 v32, s0, v49, v4, s0
	v_lshlrev_b64 v[3:4], 2, v[7:8]
	v_mad_u64_u32 v[6:7], null, s3, v18, v[6:7]
	v_mad_u64_u32 v[7:8], null, s2, v20, 0
	v_mov_b32_e32 v12, v5
	v_add_co_u32 v40, s0, v48, v3
	v_add_co_ci_u32_e64 v41, s0, v49, v4, s0
	v_lshlrev_b64 v[3:4], 2, v[11:12]
	v_mov_b32_e32 v5, v8
	v_mad_u64_u32 v[11:12], null, s2, v30, 0
	v_mov_b32_e32 v14, v6
	v_add_nc_u32_e32 v35, 0xd4a, v22
	v_mad_u64_u32 v[5:6], null, s3, v20, v[5:6]
	v_add_co_u32 v3, s0, v48, v3
	v_mov_b32_e32 v6, v12
	v_lshlrev_b64 v[12:13], 2, v[13:14]
	v_mov_b32_e32 v14, v39
	v_add_co_ci_u32_e64 v4, s0, v49, v4, s0
	v_mov_b32_e32 v8, v5
	v_mad_u64_u32 v[5:6], null, s3, v30, v[6:7]
	v_mad_u64_u32 v[14:15], null, s3, v26, v[14:15]
	v_lshlrev_b64 v[6:7], 2, v[7:8]
	v_mad_u64_u32 v[46:47], null, s2, v35, 0
	v_add_co_u32 v44, s0, v48, v12
	v_mov_b32_e32 v12, v5
	v_mov_b32_e32 v5, v43
	v_add_co_ci_u32_e64 v45, s0, v49, v13, s0
	v_mov_b32_e32 v39, v14
	v_lshlrev_b64 v[11:12], 2, v[11:12]
	v_mad_u64_u32 v[13:14], null, s3, v29, v[5:6]
	v_add_co_u32 v5, s0, v48, v6
	v_add_co_ci_u32_e64 v6, s0, v49, v7, s0
	v_mov_b32_e32 v7, v47
	v_lshlrev_b64 v[14:15], 2, v[38:39]
	v_mov_b32_e32 v43, v13
	v_add_co_u32 v11, s0, v48, v11
	v_mad_u64_u32 v[7:8], null, s3, v35, v[7:8]
	v_lshlrev_b64 v[38:39], 2, v[42:43]
	v_add_co_ci_u32_e64 v12, s0, v49, v12, s0
	v_add_co_u32 v42, s0, v48, v14
	v_add_co_ci_u32_e64 v43, s0, v49, v15, s0
	v_mov_b32_e32 v47, v7
	v_add_co_u32 v7, s0, v48, v38
	v_add_co_ci_u32_e64 v8, s0, v49, v39, s0
	v_lshlrev_b64 v[46:47], 2, v[46:47]
	s_clause 0x5
	global_load_dword v35, v[3:4], off
	global_load_dword v39, v[44:45], off
	;; [unrolled: 1-line block ×6, first 2 shown]
	v_add_co_u32 v7, s0, v48, v46
	v_add_co_ci_u32_e64 v8, s0, v49, v47, s0
	s_clause 0x5
	global_load_dword v47, v[9:10], off
	global_load_dword v48, v[33:34], off
	;; [unrolled: 1-line block ×6, first 2 shown]
	v_mov_b32_e32 v34, v21
	v_mov_b32_e32 v33, v19
	;; [unrolled: 1-line block ×4, first 2 shown]
	s_waitcnt vmcnt(14)
	v_lshrrev_b32_e32 v9, 16, v2
	s_waitcnt vmcnt(13)
	v_lshrrev_b32_e32 v44, 16, v17
	;; [unrolled: 2-line block ×15, first 2 shown]
.LBB0_13:
	s_or_b32 exec_lo, exec_lo, s1
	v_add_f16_e32 v49, v47, v16
	v_add_f16_e32 v50, v17, v2
	v_sub_f16_e32 v51, v44, v45
	v_sub_f16_e32 v53, v17, v16
	;; [unrolled: 1-line block ×3, first 2 shown]
	v_fma_f16 v49, -0.5, v49, v2
	v_sub_f16_e32 v52, v43, v46
	v_add_f16_e32 v55, v48, v17
	v_sub_f16_e32 v56, v16, v17
	v_add_f16_e32 v50, v16, v50
	v_fmamk_f16 v57, v51, 0xbb9c, v49
	v_fmac_f16_e32 v49, 0x3b9c, v51
	v_sub_f16_e32 v58, v47, v48
	v_add_f16_e32 v53, v54, v53
	v_add_f16_e32 v54, v46, v43
	;; [unrolled: 1-line block ×3, first 2 shown]
	v_fmac_f16_e32 v57, 0xb8b4, v52
	v_fmac_f16_e32 v49, 0x38b4, v52
	v_fmac_f16_e32 v2, -0.5, v55
	v_add_f16_e32 v55, v58, v56
	v_add_f16_e32 v56, v44, v9
	v_fma_f16 v54, -0.5, v54, v9
	v_sub_f16_e32 v17, v17, v48
	v_add_f16_e32 v50, v48, v50
	v_fmac_f16_e32 v57, 0x34f2, v53
	v_fmac_f16_e32 v49, 0x34f2, v53
	v_fmamk_f16 v53, v52, 0x3b9c, v2
	v_mul_f16_e32 v48, 0x34f2, v55
	v_fmac_f16_e32 v2, 0xbb9c, v52
	v_add_f16_e32 v52, v43, v56
	v_fmamk_f16 v55, v17, 0x3b9c, v54
	v_sub_f16_e32 v16, v16, v47
	v_sub_f16_e32 v47, v44, v43
	;; [unrolled: 1-line block ×3, first 2 shown]
	v_fmac_f16_e32 v54, 0xbb9c, v17
	v_add_f16_e32 v58, v45, v44
	v_add_f16_e32 v52, v46, v52
	v_fmac_f16_e32 v55, 0x38b4, v16
	v_add_f16_e32 v47, v56, v47
	v_fmac_f16_e32 v54, 0xb8b4, v16
	v_fmac_f16_e32 v9, -0.5, v58
	v_fmac_f16_e32 v53, 0xb8b4, v51
	v_fmac_f16_e32 v2, 0x38b4, v51
	v_add_f16_e32 v51, v45, v52
	v_fmac_f16_e32 v55, 0x34f2, v47
	v_fmac_f16_e32 v54, 0x34f2, v47
	v_add_f16_e32 v47, v35, v38
	v_fmamk_f16 v52, v16, 0xbb9c, v9
	v_sub_f16_e32 v43, v43, v44
	v_sub_f16_e32 v44, v46, v45
	v_fmac_f16_e32 v9, 0x3b9c, v16
	v_sub_f16_e32 v56, v42, v38
	v_sub_f16_e32 v58, v39, v35
	v_add_f16_e32 v45, v42, v4
	v_fma_f16 v46, -0.5, v47, v4
	v_sub_f16_e32 v47, v41, v36
	v_fmac_f16_e32 v52, 0x38b4, v17
	v_add_f16_e32 v43, v44, v43
	v_fmac_f16_e32 v9, 0xb8b4, v17
	v_add_f16_e32 v17, v58, v56
	v_add_f16_e32 v56, v39, v42
	;; [unrolled: 1-line block ×3, first 2 shown]
	v_fmamk_f16 v44, v47, 0xbb9c, v46
	v_sub_f16_e32 v45, v40, v37
	v_fmac_f16_e32 v52, 0x34f2, v43
	v_fmac_f16_e32 v46, 0x3b9c, v47
	;; [unrolled: 1-line block ×3, first 2 shown]
	v_fmac_f16_e32 v4, -0.5, v56
	v_sub_f16_e32 v43, v38, v42
	v_sub_f16_e32 v56, v35, v39
	v_add_f16_e32 v58, v41, v8
	v_add_f16_e32 v16, v35, v16
	v_fmac_f16_e32 v44, 0xb8b4, v45
	v_fmac_f16_e32 v46, 0x38b4, v45
	v_add_f16_e32 v59, v37, v40
	v_add_f16_e32 v43, v56, v43
	;; [unrolled: 1-line block ×4, first 2 shown]
	v_fmac_f16_e32 v44, 0x34f2, v17
	v_fmac_f16_e32 v46, 0x34f2, v17
	v_fmamk_f16 v17, v45, 0x3b9c, v4
	v_fma_f16 v58, -0.5, v59, v8
	v_sub_f16_e32 v39, v42, v39
	v_mul_f16_e32 v42, 0x34f2, v43
	v_fmac_f16_e32 v4, 0xbb9c, v45
	v_add_f16_e32 v43, v37, v56
	v_add_f16_e32 v56, v36, v41
	v_fmac_f16_e32 v17, 0xb8b4, v47
	v_fmamk_f16 v45, v39, 0x3b9c, v58
	v_sub_f16_e32 v35, v38, v35
	v_sub_f16_e32 v38, v41, v40
	;; [unrolled: 1-line block ×3, first 2 shown]
	v_fmac_f16_e32 v4, 0x38b4, v47
	v_fmac_f16_e32 v8, -0.5, v56
	v_add_f16_e32 v47, v36, v43
	v_fmac_f16_e32 v58, 0xbb9c, v39
	v_sub_f16_e32 v36, v37, v36
	v_add_f16_e32 v37, v5, v6
	v_fmac_f16_e32 v45, 0x38b4, v35
	v_add_f16_e32 v38, v59, v38
	v_fmamk_f16 v56, v35, 0xbb9c, v8
	v_sub_f16_e32 v40, v40, v41
	v_fmac_f16_e32 v58, 0xb8b4, v35
	v_fmac_f16_e32 v8, 0x3b9c, v35
	v_fma_f16 v41, -0.5, v37, v3
	v_sub_f16_e32 v37, v12, v13
	v_fmac_f16_e32 v45, 0x34f2, v38
	v_fmac_f16_e32 v56, 0x38b4, v39
	v_add_f16_e32 v36, v36, v40
	v_add_f16_e32 v35, v14, v3
	v_fmac_f16_e32 v58, 0x34f2, v38
	v_fmac_f16_e32 v8, 0xb8b4, v39
	v_fmamk_f16 v38, v37, 0xbb9c, v41
	v_sub_f16_e32 v39, v11, v10
	v_sub_f16_e32 v40, v14, v6
	;; [unrolled: 1-line block ×3, first 2 shown]
	v_fmac_f16_e32 v41, 0x3b9c, v37
	v_add_f16_e32 v59, v15, v14
	v_fmac_f16_e32 v56, 0x34f2, v36
	v_add_f16_e32 v35, v6, v35
	;; [unrolled: 2-line block ×3, first 2 shown]
	v_fmac_f16_e32 v41, 0x38b4, v39
	v_fmac_f16_e32 v8, 0x34f2, v36
	v_fmac_f16_e32 v3, -0.5, v59
	v_add_f16_e32 v36, v12, v7
	v_add_f16_e32 v35, v5, v35
	v_fmac_f16_e32 v38, 0x34f2, v40
	v_fmac_f16_e32 v41, 0x34f2, v40
	v_add_f16_e32 v40, v10, v11
	v_fmamk_f16 v43, v39, 0x3b9c, v3
	v_sub_f16_e32 v59, v6, v14
	v_sub_f16_e32 v60, v5, v15
	v_add_f16_e32 v36, v11, v36
	v_fmac_f16_e32 v3, 0xbb9c, v39
	v_add_f16_e32 v39, v13, v12
	v_add_f16_e32 v35, v15, v35
	v_fma_f16 v61, -0.5, v40, v7
	v_sub_f16_e32 v14, v14, v15
	v_add_f16_e32 v15, v60, v59
	v_add_f16_e32 v36, v10, v36
	v_sub_f16_e32 v5, v6, v5
	v_fmac_f16_e32 v7, -0.5, v39
	v_fmac_f16_e32 v43, 0xb8b4, v37
	v_fmamk_f16 v59, v14, 0x3b9c, v61
	v_mul_f16_e32 v6, 0x34f2, v15
	v_fmac_f16_e32 v3, 0x38b4, v37
	v_add_f16_e32 v15, v13, v36
	v_sub_f16_e32 v36, v12, v11
	v_sub_f16_e32 v37, v13, v10
	v_fmac_f16_e32 v61, 0xbb9c, v14
	v_fmamk_f16 v60, v5, 0xbb9c, v7
	v_sub_f16_e32 v11, v11, v12
	v_sub_f16_e32 v10, v10, v13
	v_fmac_f16_e32 v7, 0x3b9c, v5
	v_fmac_f16_e32 v59, 0x38b4, v5
	;; [unrolled: 1-line block ×4, first 2 shown]
	v_add_f16_e32 v5, v10, v11
	v_fmac_f16_e32 v7, 0xb8b4, v14
	v_pack_b32_f16 v2, v53, v2
	v_pack_b32_f16 v10, v17, v4
	v_pack_b32_f16 v11, v43, v3
	v_fmac_f16_e32 v60, 0x34f2, v5
	v_fmac_f16_e32 v7, 0x34f2, v5
	v_mad_u32_u24 v13, v22, 10, 0
	v_pk_add_f16 v5, v48, v2 op_sel_hi:[0,1]
	v_pack_b32_f16 v4, v50, v57
	v_and_b32_e32 v17, 0xff, v22
	v_add_f16_e32 v12, v37, v36
	v_mad_i32_i24 v37, v32, 10, 0
	v_mad_i32_i24 v36, v31, 10, 0
	v_pk_add_f16 v3, v42, v10 op_sel_hi:[0,1]
	v_pack_b32_f16 v2, v16, v44
	v_pk_add_f16 v11, v6, v11 op_sel_hi:[0,1]
	v_pack_b32_f16 v10, v35, v38
	ds_write_b64 v13, v[4:5]
	ds_write_b16 v13, v49 offset:8
	ds_write_b64 v36, v[2:3]
	ds_write_b16 v36, v46 offset:8
	ds_write_b64 v37, v[10:11]
	v_lshlrev_b32_e32 v2, 3, v22
	v_lshlrev_b32_e32 v40, 3, v32
	v_mul_lo_u16 v14, 0xcd, v17
	ds_write_b16 v37, v41 offset:8
	v_lshlrev_b32_e32 v41, 3, v31
	v_fmac_f16_e32 v59, 0x34f2, v12
	v_fmac_f16_e32 v61, 0x34f2, v12
	v_sub_nc_u32_e32 v35, v13, v2
	v_sub_nc_u32_e32 v42, v37, v40
	v_pack_b32_f16 v10, v52, v9
	v_pack_b32_f16 v9, v51, v55
	;; [unrolled: 1-line block ×4, first 2 shown]
	v_lshrrev_b16 v8, 10, v14
	v_sub_nc_u32_e32 v43, v36, v41
	v_lshl_add_u32 v39, v34, 1, 0
	v_lshl_add_u32 v38, v33, 1, 0
	s_waitcnt lgkmcnt(0)
	s_barrier
	buffer_gl0_inv
	ds_read_u16 v2, v35
	ds_read_u16 v16, v35 offset:2430
	ds_read_u16 v50, v35 offset:2916
	;; [unrolled: 1-line block ×9, first 2 shown]
	ds_read_u16 v4, v42
	ds_read_u16 v6, v43
	;; [unrolled: 1-line block ×4, first 2 shown]
	ds_read_u16 v67, v35 offset:6804
	s_waitcnt lgkmcnt(0)
	s_barrier
	buffer_gl0_inv
	ds_write_b64 v13, v[9:10]
	ds_write_b16 v13, v54 offset:8
	v_mov_b32_e32 v13, 0xcccd
	ds_write_b64 v36, v[11:12]
	v_mul_lo_u16 v11, v8, 5
	v_pack_b32_f16 v10, v60, v7
	v_pack_b32_f16 v9, v15, v59
	v_mul_u32_u24_sdwa v7, v31, v13 dst_sel:DWORD dst_unused:UNUSED_PAD src0_sel:WORD_0 src1_sel:DWORD
	ds_write_b16 v36, v58 offset:8
	v_sub_nc_u16 v51, v22, v11
	v_mul_u32_u24_sdwa v11, v32, v13 dst_sel:DWORD dst_unused:UNUSED_PAD src0_sel:WORD_0 src1_sel:DWORD
	ds_write_b64 v37, v[9:10]
	ds_write_b16 v37, v61 offset:8
	v_lshrrev_b32_e32 v7, 18, v7
	v_mul_u32_u24_sdwa v12, v33, v13 dst_sel:DWORD dst_unused:UNUSED_PAD src0_sel:WORD_0 src1_sel:DWORD
	v_mov_b32_e32 v44, 3
	v_lshrrev_b32_e32 v9, 18, v11
	s_waitcnt lgkmcnt(0)
	v_mul_lo_u16 v10, v7, 5
	v_lshrrev_b32_e32 v54, 18, v12
	v_mul_u32_u24_sdwa v12, v34, v13 dst_sel:DWORD dst_unused:UNUSED_PAD src0_sel:WORD_0 src1_sel:DWORD
	v_mul_lo_u16 v14, v9, 5
	v_lshlrev_b32_sdwa v11, v44, v51 dst_sel:DWORD dst_unused:UNUSED_PAD src0_sel:DWORD src1_sel:BYTE_0
	v_sub_nc_u16 v52, v31, v10
	s_barrier
	v_lshrrev_b32_e32 v56, 18, v12
	v_sub_nc_u16 v55, v32, v14
	v_mul_lo_u16 v14, v54, 5
	v_lshlrev_b32_sdwa v13, v44, v52 dst_sel:DWORD dst_unused:UNUSED_PAD src0_sel:DWORD src1_sel:WORD_0
	buffer_gl0_inv
	v_mul_lo_u16 v45, v56, 5
	global_load_dwordx2 v[10:11], v11, s[8:9]
	v_sub_nc_u16 v58, v33, v14
	global_load_dwordx2 v[12:13], v13, s[8:9]
	v_lshlrev_b32_sdwa v15, v44, v55 dst_sel:DWORD dst_unused:UNUSED_PAD src0_sel:DWORD src1_sel:WORD_0
	v_sub_nc_u16 v59, v34, v45
	ds_read_u16 v60, v35 offset:2430
	ds_read_u16 v68, v35 offset:2916
	v_lshlrev_b32_sdwa v46, v44, v58 dst_sel:DWORD dst_unused:UNUSED_PAD src0_sel:DWORD src1_sel:WORD_0
	global_load_dwordx2 v[14:15], v15, s[8:9]
	v_lshlrev_b32_sdwa v45, v44, v59 dst_sel:DWORD dst_unused:UNUSED_PAD src0_sel:DWORD src1_sel:WORD_0
	ds_read_u16 v61, v35 offset:4860
	ds_read_u16 v69, v35 offset:5346
	global_load_dwordx2 v[46:47], v46, s[8:9]
	ds_read_u16 v70, v35 offset:3402
	global_load_dwordx2 v[48:49], v45, s[8:9]
	ds_read_u16 v71, v35 offset:3888
	ds_read_u16 v72, v35 offset:4374
	;; [unrolled: 1-line block ×5, first 2 shown]
	ds_read_u16 v76, v35
	ds_read_u16 v77, v42
	;; [unrolled: 1-line block ×5, first 2 shown]
	v_mov_b32_e32 v45, 1
	v_mul_u32_u24_e32 v7, 30, v7
	v_mul_u32_u24_e32 v9, 30, v9
	s_waitcnt vmcnt(0) lgkmcnt(0)
	s_barrier
	v_lshlrev_b32_sdwa v51, v45, v51 dst_sel:DWORD dst_unused:UNUSED_PAD src0_sel:DWORD src1_sel:BYTE_0
	v_lshlrev_b32_sdwa v52, v45, v52 dst_sel:DWORD dst_unused:UNUSED_PAD src0_sel:DWORD src1_sel:WORD_0
	v_lshlrev_b32_sdwa v55, v45, v55 dst_sel:DWORD dst_unused:UNUSED_PAD src0_sel:DWORD src1_sel:WORD_0
	;; [unrolled: 1-line block ×3, first 2 shown]
	buffer_gl0_inv
	v_lshlrev_b32_sdwa v59, v45, v59 dst_sel:DWORD dst_unused:UNUSED_PAD src0_sel:DWORD src1_sel:WORD_0
	v_add3_u32 v7, 0, v7, v52
	v_add3_u32 v9, 0, v9, v55
	v_cmp_gt_u32_e64 s0, 0x87, v22
	v_mul_f16_sdwa v81, v60, v10 dst_sel:DWORD dst_unused:UNUSED_PAD src0_sel:DWORD src1_sel:WORD_1
	v_mul_f16_sdwa v82, v16, v10 dst_sel:DWORD dst_unused:UNUSED_PAD src0_sel:DWORD src1_sel:WORD_1
	;; [unrolled: 1-line block ×9, first 2 shown]
	v_fmac_f16_e32 v81, v16, v10
	v_mul_f16_sdwa v16, v53, v14 dst_sel:DWORD dst_unused:UNUSED_PAD src0_sel:DWORD src1_sel:WORD_1
	v_fma_f16 v10, v60, v10, -v82
	v_fmac_f16_e32 v83, v65, v11
	v_fma_f16 v11, v61, v11, -v84
	v_mul_f16_sdwa v61, v71, v46 dst_sel:DWORD dst_unused:UNUSED_PAD src0_sel:DWORD src1_sel:WORD_1
	v_mul_f16_sdwa v82, v57, v46 dst_sel:DWORD dst_unused:UNUSED_PAD src0_sel:DWORD src1_sel:WORD_1
	v_fmac_f16_e32 v85, v50, v12
	v_mul_f16_sdwa v50, v63, v47 dst_sel:DWORD dst_unused:UNUSED_PAD src0_sel:DWORD src1_sel:WORD_1
	v_mul_f16_sdwa v60, v73, v15 dst_sel:DWORD dst_unused:UNUSED_PAD src0_sel:DWORD src1_sel:WORD_1
	;; [unrolled: 1-line block ×4, first 2 shown]
	v_fma_f16 v12, v68, v12, -v86
	v_mul_f16_sdwa v68, v72, v48 dst_sel:DWORD dst_unused:UNUSED_PAD src0_sel:DWORD src1_sel:WORD_1
	v_fmac_f16_e32 v87, v64, v13
	v_mul_f16_sdwa v64, v66, v48 dst_sel:DWORD dst_unused:UNUSED_PAD src0_sel:DWORD src1_sel:WORD_1
	v_fma_f16 v13, v69, v13, -v88
	v_mul_f16_sdwa v69, v75, v49 dst_sel:DWORD dst_unused:UNUSED_PAD src0_sel:DWORD src1_sel:WORD_1
	v_mul_f16_sdwa v86, v67, v49 dst_sel:DWORD dst_unused:UNUSED_PAD src0_sel:DWORD src1_sel:WORD_1
	v_fmac_f16_e32 v89, v53, v14
	v_fma_f16 v14, v70, v14, -v16
	v_fmac_f16_e32 v61, v57, v46
	v_fma_f16 v16, v71, v46, -v82
	v_fma_f16 v46, v74, v47, -v50
	v_fmac_f16_e32 v60, v62, v15
	v_fma_f16 v15, v73, v15, -v65
	v_fmac_f16_e32 v84, v63, v47
	v_fmac_f16_e32 v68, v66, v48
	v_fma_f16 v47, v72, v48, -v64
	v_fmac_f16_e32 v69, v67, v49
	v_fma_f16 v48, v75, v49, -v86
	v_add_f16_e32 v50, v81, v83
	v_add_f16_e32 v53, v76, v10
	v_sub_f16_e32 v62, v10, v11
	v_add_f16_e32 v10, v10, v11
	v_add_f16_e32 v63, v6, v85
	;; [unrolled: 1-line block ×4, first 2 shown]
	v_sub_f16_e32 v66, v85, v87
	v_sub_f16_e32 v67, v12, v13
	v_add_f16_e32 v12, v12, v13
	v_add_f16_e32 v82, v16, v46
	v_sub_f16_e32 v85, v16, v46
	v_add_f16_e32 v16, v80, v16
	v_add_f16_e32 v49, v2, v81
	v_sub_f16_e32 v57, v81, v83
	v_add_f16_e32 v72, v77, v14
	v_sub_f16_e32 v74, v14, v15
	v_add_f16_e32 v14, v14, v15
	v_fmac_f16_e32 v2, -0.5, v50
	v_add_f16_e32 v11, v53, v11
	v_fmac_f16_e32 v76, -0.5, v10
	v_add_f16_e32 v10, v63, v87
	v_add_f16_e32 v63, v65, v13
	v_fmac_f16_e32 v78, -0.5, v12
	v_fmac_f16_e32 v80, -0.5, v82
	v_sub_f16_e32 v53, v61, v84
	v_add_f16_e32 v65, v16, v46
	v_add_f16_e32 v16, v68, v69
	;; [unrolled: 1-line block ×3, first 2 shown]
	v_fmac_f16_e32 v77, -0.5, v14
	v_fmamk_f16 v14, v62, 0xbaee, v2
	v_fmac_f16_e32 v2, 0x3aee, v62
	v_fmamk_f16 v62, v57, 0x3aee, v76
	v_fmac_f16_e32 v76, 0xbaee, v57
	;; [unrolled: 2-line block ×4, first 2 shown]
	v_add_f16_e32 v53, v3, v68
	v_fmac_f16_e32 v3, -0.5, v16
	v_sub_f16_e32 v16, v47, v48
	v_add_f16_e32 v47, v79, v47
	v_fmac_f16_e32 v79, -0.5, v46
	v_mov_b32_e32 v46, 30
	v_add_f16_e32 v71, v89, v60
	v_add_f16_e32 v49, v49, v83
	;; [unrolled: 1-line block ×4, first 2 shown]
	v_mul_u32_u24_sdwa v8, v8, v46 dst_sel:DWORD dst_unused:UNUSED_PAD src0_sel:WORD_0 src1_sel:DWORD
	v_fmac_f16_e32 v6, -0.5, v64
	v_fmac_f16_e32 v4, -0.5, v71
	v_add_f16_e32 v81, v5, v61
	v_fmac_f16_e32 v5, -0.5, v75
	v_add3_u32 v8, 0, v8, v51
	v_sub_f16_e32 v73, v89, v60
	v_add_f16_e32 v12, v70, v60
	v_add_f16_e32 v60, v72, v15
	v_fmamk_f16 v15, v67, 0xbaee, v6
	ds_write_b16 v8, v49
	ds_write_b16 v8, v14 offset:10
	ds_write_b16 v8, v2 offset:20
	ds_write_b16 v7, v10
	v_mul_u32_u24_e32 v2, 30, v54
	v_fmac_f16_e32 v6, 0x3aee, v67
	v_mul_u32_u24_e32 v10, 30, v56
	v_fmamk_f16 v50, v74, 0xbaee, v4
	v_fmac_f16_e32 v4, 0x3aee, v74
	v_add_f16_e32 v13, v81, v84
	v_add3_u32 v2, 0, v2, v58
	v_fmamk_f16 v61, v85, 0xbaee, v5
	v_fmac_f16_e32 v5, 0x3aee, v85
	v_add_f16_e32 v53, v53, v69
	ds_write_b16 v7, v6 offset:20
	v_add3_u32 v6, 0, v10, v59
	v_fmamk_f16 v64, v73, 0x3aee, v77
	v_fmac_f16_e32 v77, 0xbaee, v73
	v_sub_f16_e32 v67, v68, v69
	v_fmamk_f16 v68, v16, 0xbaee, v3
	v_fmac_f16_e32 v3, 0x3aee, v16
	ds_write_b16 v7, v15 offset:10
	ds_write_b16 v9, v12
	ds_write_b16 v9, v50 offset:10
	ds_write_b16 v9, v4 offset:20
	ds_write_b16 v2, v13
	ds_write_b16 v2, v61 offset:10
	;; [unrolled: 3-line block ×3, first 2 shown]
	ds_write_b16 v6, v3 offset:20
	v_mov_b32_e32 v4, 0x8889
	v_add_f16_e32 v69, v47, v48
	s_waitcnt lgkmcnt(0)
	s_barrier
	buffer_gl0_inv
	ds_read_u16 v12, v35
	ds_read_u16 v54, v35 offset:2430
	ds_read_u16 v52, v35 offset:2916
	;; [unrolled: 1-line block ×9, first 2 shown]
	ds_read_u16 v14, v42
	ds_read_u16 v16, v43
	;; [unrolled: 1-line block ×4, first 2 shown]
	ds_read_u16 v51, v35 offset:6804
	s_waitcnt lgkmcnt(0)
	s_barrier
	buffer_gl0_inv
	ds_write_b16 v8, v11
	ds_write_b16 v8, v62 offset:10
	ds_write_b16 v8, v76 offset:20
	ds_write_b16 v7, v63
	ds_write_b16 v7, v57 offset:10
	v_mul_lo_u16 v3, 0x89, v17
	ds_write_b16 v7, v78 offset:20
	ds_write_b16 v9, v60
	ds_write_b16 v9, v64 offset:10
	ds_write_b16 v9, v77 offset:20
	ds_write_b16 v2, v65
	ds_write_b16 v2, v66 offset:10
	ds_write_b16 v2, v80 offset:20
	ds_write_b16 v6, v69
	v_mul_u32_u24_sdwa v2, v32, v4 dst_sel:DWORD dst_unused:UNUSED_PAD src0_sel:WORD_0 src1_sel:DWORD
	v_fmamk_f16 v70, v67, 0x3aee, v79
	v_fmac_f16_e32 v79, 0xbaee, v67
	v_lshrrev_b16 v58, 11, v3
	v_mul_u32_u24_sdwa v3, v31, v4 dst_sel:DWORD dst_unused:UNUSED_PAD src0_sel:WORD_0 src1_sel:DWORD
	v_lshrrev_b32_e32 v61, 19, v2
	v_mul_u32_u24_sdwa v2, v33, v4 dst_sel:DWORD dst_unused:UNUSED_PAD src0_sel:WORD_0 src1_sel:DWORD
	v_mul_u32_u24_sdwa v4, v34, v4 dst_sel:DWORD dst_unused:UNUSED_PAD src0_sel:WORD_0 src1_sel:DWORD
	ds_write_b16 v6, v70 offset:10
	v_lshrrev_b32_e32 v59, 19, v3
	ds_write_b16 v6, v79 offset:20
	v_mul_lo_u16 v6, v61, 15
	v_lshrrev_b32_e32 v63, 19, v2
	v_lshrrev_b32_e32 v66, 19, v4
	v_mul_lo_u16 v5, v58, 15
	v_mul_lo_u16 v3, v59, 15
	v_sub_nc_u16 v64, v32, v6
	v_mul_lo_u16 v6, v63, 15
	v_mul_lo_u16 v8, v66, 15
	v_sub_nc_u16 v60, v22, v5
	v_sub_nc_u16 v62, v31, v3
	s_waitcnt lgkmcnt(0)
	v_sub_nc_u16 v65, v33, v6
	v_sub_nc_u16 v67, v34, v8
	v_lshlrev_b32_sdwa v5, v44, v60 dst_sel:DWORD dst_unused:UNUSED_PAD src0_sel:DWORD src1_sel:BYTE_0
	v_lshlrev_b32_sdwa v7, v44, v62 dst_sel:DWORD dst_unused:UNUSED_PAD src0_sel:DWORD src1_sel:WORD_0
	s_barrier
	v_lshlrev_b32_sdwa v9, v44, v65 dst_sel:DWORD dst_unused:UNUSED_PAD src0_sel:DWORD src1_sel:WORD_0
	v_lshlrev_b32_sdwa v10, v44, v67 dst_sel:DWORD dst_unused:UNUSED_PAD src0_sel:DWORD src1_sel:WORD_0
	buffer_gl0_inv
	global_load_dwordx2 v[2:3], v5, s[8:9] offset:40
	v_mul_lo_u16 v17, 0x6d, v17
	s_clause 0x2
	global_load_dwordx2 v[8:9], v9, s[8:9] offset:40
	global_load_dwordx2 v[4:5], v7, s[8:9] offset:40
	;; [unrolled: 1-line block ×3, first 2 shown]
	v_lshlrev_b32_sdwa v7, v44, v64 dst_sel:DWORD dst_unused:UNUSED_PAD src0_sel:DWORD src1_sel:WORD_0
	v_lshrrev_b16 v68, 8, v17
	v_mov_b32_e32 v69, 0x5a
	v_mul_u32_u24_e32 v61, 0x5a, v61
	v_mul_u32_u24_e32 v63, 0x5a, v63
	global_load_dwordx2 v[6:7], v7, s[8:9] offset:40
	v_sub_nc_u16 v56, v22, v68
	v_mul_u32_u24_sdwa v69, v58, v69 dst_sel:DWORD dst_unused:UNUSED_PAD src0_sel:WORD_0 src1_sel:DWORD
	v_lshlrev_b32_sdwa v64, v45, v64 dst_sel:DWORD dst_unused:UNUSED_PAD src0_sel:DWORD src1_sel:WORD_0
	v_lshlrev_b32_sdwa v65, v45, v65 dst_sel:DWORD dst_unused:UNUSED_PAD src0_sel:DWORD src1_sel:WORD_0
	v_mov_b32_e32 v17, 0x2d83
	v_lshrrev_b16 v73, 1, v56
	v_lshlrev_b32_sdwa v60, v45, v60 dst_sel:DWORD dst_unused:UNUSED_PAD src0_sel:DWORD src1_sel:BYTE_0
	v_add3_u32 v61, 0, v61, v64
	v_add3_u32 v65, 0, v63, v65
	ds_read_u16 v63, v35 offset:2430
	ds_read_u16 v64, v35 offset:4860
	v_and_b32_e32 v58, 0x7f, v73
	v_mul_u32_u24_sdwa v57, v31, v17 dst_sel:DWORD dst_unused:UNUSED_PAD src0_sel:WORD_0 src1_sel:DWORD
	v_mul_u32_u24_sdwa v70, v32, v17 dst_sel:DWORD dst_unused:UNUSED_PAD src0_sel:WORD_0 src1_sel:DWORD
	;; [unrolled: 1-line block ×4, first 2 shown]
	v_add_nc_u16 v58, v58, v68
	v_lshrrev_b32_e32 v17, 19, v57
	v_lshrrev_b32_e32 v56, 19, v70
	;; [unrolled: 1-line block ×3, first 2 shown]
	v_mul_u32_u24_e32 v70, 0x5a, v59
	v_lshrrev_b16 v58, 5, v58
	v_lshlrev_b32_sdwa v62, v45, v62 dst_sel:DWORD dst_unused:UNUSED_PAD src0_sel:DWORD src1_sel:WORD_0
	v_add3_u32 v69, 0, v69, v60
	v_mul_lo_u16 v59, v17, 45
	v_mul_u32_u24_e32 v66, 0x5a, v66
	v_mul_lo_u16 v71, v58, 45
	v_add3_u32 v62, 0, v70, v62
	v_lshlrev_b32_sdwa v67, v45, v67 dst_sel:DWORD dst_unused:UNUSED_PAD src0_sel:DWORD src1_sel:WORD_0
	v_sub_nc_u16 v59, v31, v59
	v_mul_lo_u16 v68, v56, 45
	v_sub_nc_u16 v60, v22, v71
	ds_read_u16 v70, v35 offset:2916
	ds_read_u16 v71, v35 offset:5346
	;; [unrolled: 1-line block ×8, first 2 shown]
	ds_read_u16 v80, v42
	ds_read_u16 v81, v43
	;; [unrolled: 1-line block ×5, first 2 shown]
	v_add3_u32 v66, 0, v66, v67
	v_lshlrev_b32_sdwa v73, v44, v59 dst_sel:DWORD dst_unused:UNUSED_PAD src0_sel:DWORD src1_sel:WORD_0
	s_waitcnt vmcnt(0) lgkmcnt(0)
	v_lshlrev_b32_sdwa v67, v44, v60 dst_sel:DWORD dst_unused:UNUSED_PAD src0_sel:DWORD src1_sel:BYTE_0
	s_barrier
	buffer_gl0_inv
	v_mul_u32_u24_e32 v17, 0x10e, v17
	v_lshlrev_b32_sdwa v59, v45, v59 dst_sel:DWORD dst_unused:UNUSED_PAD src0_sel:DWORD src1_sel:WORD_0
	v_mul_u32_u24_e32 v56, 0x10e, v56
	v_add3_u32 v17, 0, v17, v59
	v_mul_f16_sdwa v85, v63, v2 dst_sel:DWORD dst_unused:UNUSED_PAD src0_sel:DWORD src1_sel:WORD_1
	v_mul_f16_sdwa v86, v54, v2 dst_sel:DWORD dst_unused:UNUSED_PAD src0_sel:DWORD src1_sel:WORD_1
	;; [unrolled: 1-line block ×5, first 2 shown]
	v_fmac_f16_e32 v85, v54, v2
	v_mul_f16_sdwa v54, v52, v4 dst_sel:DWORD dst_unused:UNUSED_PAD src0_sel:DWORD src1_sel:WORD_1
	v_fma_f16 v2, v63, v2, -v86
	v_mul_f16_sdwa v63, v71, v5 dst_sel:DWORD dst_unused:UNUSED_PAD src0_sel:DWORD src1_sel:WORD_1
	v_fmac_f16_e32 v87, v55, v3
	v_mul_f16_sdwa v55, v53, v5 dst_sel:DWORD dst_unused:UNUSED_PAD src0_sel:DWORD src1_sel:WORD_1
	v_fma_f16 v3, v64, v3, -v88
	v_mul_f16_sdwa v64, v74, v6 dst_sel:DWORD dst_unused:UNUSED_PAD src0_sel:DWORD src1_sel:WORD_1
	v_mul_f16_sdwa v86, v49, v6 dst_sel:DWORD dst_unused:UNUSED_PAD src0_sel:DWORD src1_sel:WORD_1
	;; [unrolled: 1-line block ×3, first 2 shown]
	v_fmac_f16_e32 v89, v52, v4
	v_fma_f16 v4, v70, v4, -v54
	v_mul_f16_sdwa v54, v75, v8 dst_sel:DWORD dst_unused:UNUSED_PAD src0_sel:DWORD src1_sel:WORD_1
	v_fmac_f16_e32 v63, v53, v5
	v_fma_f16 v5, v71, v5, -v55
	v_mul_f16_sdwa v55, v78, v9 dst_sel:DWORD dst_unused:UNUSED_PAD src0_sel:DWORD src1_sel:WORD_1
	v_mul_f16_sdwa v71, v76, v10 dst_sel:DWORD dst_unused:UNUSED_PAD src0_sel:DWORD src1_sel:WORD_1
	v_fmac_f16_e32 v64, v49, v6
	v_fma_f16 v6, v74, v6, -v86
	v_mul_f16_sdwa v74, v79, v11 dst_sel:DWORD dst_unused:UNUSED_PAD src0_sel:DWORD src1_sel:WORD_1
	v_mul_f16_sdwa v52, v50, v7 dst_sel:DWORD dst_unused:UNUSED_PAD src0_sel:DWORD src1_sel:WORD_1
	;; [unrolled: 1-line block ×5, first 2 shown]
	v_fmac_f16_e32 v88, v50, v7
	v_mul_f16_sdwa v50, v51, v11 dst_sel:DWORD dst_unused:UNUSED_PAD src0_sel:DWORD src1_sel:WORD_1
	v_fmac_f16_e32 v54, v46, v8
	v_fmac_f16_e32 v55, v47, v9
	v_fmac_f16_e32 v71, v48, v10
	v_fmac_f16_e32 v74, v51, v11
	v_add_f16_e32 v48, v84, v2
	v_fma_f16 v7, v77, v7, -v52
	v_fma_f16 v8, v75, v8, -v53
	;; [unrolled: 1-line block ×5, first 2 shown]
	v_add_f16_e32 v46, v12, v85
	v_add_f16_e32 v51, v16, v89
	;; [unrolled: 1-line block ×3, first 2 shown]
	v_sub_f16_e32 v50, v2, v3
	v_add_f16_e32 v2, v2, v3
	v_add_f16_e32 v52, v89, v63
	;; [unrolled: 1-line block ×3, first 2 shown]
	v_sub_f16_e32 v75, v4, v5
	v_add_f16_e32 v4, v4, v5
	v_add_f16_e32 v77, v64, v88
	;; [unrolled: 1-line block ×5, first 2 shown]
	v_sub_f16_e32 v49, v85, v87
	v_sub_f16_e32 v70, v89, v63
	v_add_f16_e32 v78, v80, v6
	v_sub_f16_e32 v79, v6, v7
	v_add_f16_e32 v6, v6, v7
	v_add_f16_e32 v46, v46, v87
	;; [unrolled: 1-line block ×5, first 2 shown]
	v_fmac_f16_e32 v12, -0.5, v47
	v_add_f16_e32 v47, v13, v71
	v_fmac_f16_e32 v84, -0.5, v2
	v_add_f16_e32 v2, v82, v10
	v_add_f16_e32 v76, v14, v64
	;; [unrolled: 1-line block ×4, first 2 shown]
	v_sub_f16_e32 v8, v8, v9
	v_sub_f16_e32 v10, v10, v11
	v_fmac_f16_e32 v16, -0.5, v52
	v_fmac_f16_e32 v81, -0.5, v4
	;; [unrolled: 1-line block ×5, first 2 shown]
	v_sub_f16_e32 v64, v64, v88
	v_sub_f16_e32 v54, v54, v55
	;; [unrolled: 1-line block ×3, first 2 shown]
	v_fmac_f16_e32 v80, -0.5, v6
	v_fmac_f16_e32 v83, -0.5, v87
	;; [unrolled: 1-line block ×3, first 2 shown]
	v_add_f16_e32 v47, v47, v74
	v_add_f16_e32 v2, v2, v11
	v_fmamk_f16 v11, v50, 0xbaee, v12
	v_fmamk_f16 v74, v49, 0x3aee, v84
	v_fmac_f16_e32 v12, 0x3aee, v50
	v_fmac_f16_e32 v84, 0xbaee, v49
	v_add_f16_e32 v5, v53, v5
	v_add_f16_e32 v4, v76, v88
	v_fmamk_f16 v48, v75, 0xbaee, v16
	v_fmac_f16_e32 v16, 0x3aee, v75
	v_fmamk_f16 v75, v70, 0x3aee, v81
	v_fmamk_f16 v49, v79, 0xbaee, v14
	v_fmac_f16_e32 v14, 0x3aee, v79
	v_fmamk_f16 v50, v8, 0xbaee, v15
	v_fmac_f16_e32 v15, 0x3aee, v8
	v_fmamk_f16 v52, v10, 0xbaee, v13
	v_fmac_f16_e32 v13, 0x3aee, v10
	v_add_f16_e32 v7, v78, v7
	v_add_f16_e32 v6, v85, v55
	;; [unrolled: 1-line block ×3, first 2 shown]
	v_fmac_f16_e32 v81, 0xbaee, v70
	v_fmamk_f16 v70, v64, 0x3aee, v80
	v_fmac_f16_e32 v80, 0xbaee, v64
	v_fmamk_f16 v8, v54, 0x3aee, v83
	v_fmac_f16_e32 v83, 0xbaee, v54
	v_fmamk_f16 v10, v71, 0x3aee, v82
	v_fmac_f16_e32 v82, 0xbaee, v71
	ds_write_b16 v69, v46
	ds_write_b16 v69, v11 offset:30
	ds_write_b16 v69, v12 offset:60
	ds_write_b16 v62, v51
	ds_write_b16 v62, v48 offset:30
	ds_write_b16 v62, v16 offset:60
	;; [unrolled: 3-line block ×5, first 2 shown]
	s_waitcnt lgkmcnt(0)
	s_barrier
	buffer_gl0_inv
	ds_read_u16 v14, v35
	ds_read_u16 v63, v35 offset:2430
	ds_read_u16 v54, v35 offset:2916
	;; [unrolled: 1-line block ×9, first 2 shown]
	ds_read_u16 v16, v42
	ds_read_u16 v47, v43
	;; [unrolled: 1-line block ×4, first 2 shown]
	ds_read_u16 v52, v35 offset:6804
	s_waitcnt lgkmcnt(0)
	s_barrier
	buffer_gl0_inv
	ds_write_b16 v69, v3
	ds_write_b16 v69, v74 offset:30
	ds_write_b16 v69, v84 offset:60
	ds_write_b16 v62, v5
	ds_write_b16 v62, v75 offset:30
	ds_write_b16 v62, v81 offset:60
	;; [unrolled: 3-line block ×5, first 2 shown]
	s_waitcnt lgkmcnt(0)
	s_barrier
	buffer_gl0_inv
	s_clause 0x1
	global_load_dwordx2 v[4:5], v67, s[8:9] offset:160
	global_load_dwordx2 v[12:13], v73, s[8:9] offset:160
	v_mul_lo_u16 v2, v57, 45
	v_lshrrev_b32_e32 v67, 19, v72
	v_sub_nc_u16 v65, v32, v68
	v_mul_u32_u24_e32 v57, 0x10e, v57
	ds_read_u16 v59, v35 offset:4860
	v_sub_nc_u16 v66, v33, v2
	v_mul_lo_u16 v2, v67, 45
	v_lshlrev_b32_sdwa v3, v44, v65 dst_sel:DWORD dst_unused:UNUSED_PAD src0_sel:DWORD src1_sel:WORD_0
	v_mov_b32_e32 v72, 0x10e
	v_lshlrev_b32_sdwa v65, v45, v65 dst_sel:DWORD dst_unused:UNUSED_PAD src0_sel:DWORD src1_sel:WORD_0
	v_mul_u32_u24_e32 v67, 0x10e, v67
	v_sub_nc_u16 v68, v34, v2
	global_load_dwordx2 v[8:9], v3, s[8:9] offset:160
	v_mov_b32_e32 v69, 0x795d
	v_add3_u32 v65, 0, v56, v65
	v_mul_u32_u24_sdwa v56, v58, v72 dst_sel:DWORD dst_unused:UNUSED_PAD src0_sel:WORD_0 src1_sel:DWORD
	v_lshlrev_b32_sdwa v2, v44, v68 dst_sel:DWORD dst_unused:UNUSED_PAD src0_sel:DWORD src1_sel:WORD_0
	v_lshlrev_b32_sdwa v68, v45, v68 dst_sel:DWORD dst_unused:UNUSED_PAD src0_sel:DWORD src1_sel:WORD_0
	v_lshlrev_b32_sdwa v58, v45, v60 dst_sel:DWORD dst_unused:UNUSED_PAD src0_sel:DWORD src1_sel:BYTE_0
	v_mul_u32_u24_sdwa v61, v31, v69 dst_sel:DWORD dst_unused:UNUSED_PAD src0_sel:WORD_0 src1_sel:DWORD
	v_mul_u32_u24_sdwa v62, v32, v69 dst_sel:DWORD dst_unused:UNUSED_PAD src0_sel:WORD_0 src1_sel:DWORD
	global_load_dwordx2 v[6:7], v2, s[8:9] offset:160
	v_lshlrev_b32_sdwa v3, v44, v66 dst_sel:DWORD dst_unused:UNUSED_PAD src0_sel:DWORD src1_sel:WORD_0
	v_lshlrev_b32_sdwa v66, v45, v66 dst_sel:DWORD dst_unused:UNUSED_PAD src0_sel:DWORD src1_sel:WORD_0
	v_add3_u32 v67, 0, v67, v68
	v_add3_u32 v68, 0, v56, v58
	v_add_nc_u32_e32 v2, 0xffffff79, v22
	global_load_dwordx2 v[10:11], v3, s[8:9] offset:160
	v_add3_u32 v66, 0, v57, v66
	ds_read_u16 v57, v35 offset:2430
	ds_read_u16 v56, v35 offset:2916
	;; [unrolled: 1-line block ×9, first 2 shown]
	ds_read_u16 v79, v35
	ds_read_u16 v80, v42
	;; [unrolled: 1-line block ×5, first 2 shown]
	v_cndmask_b32_e64 v2, v2, v22, s0
	v_mov_b32_e32 v3, 0
	v_lshrrev_b32_e32 v61, 22, v61
	v_lshrrev_b32_e32 v62, 22, v62
	v_mul_u32_u24_sdwa v73, v33, v69 dst_sel:DWORD dst_unused:UNUSED_PAD src0_sel:WORD_0 src1_sel:DWORD
	v_lshlrev_b32_e32 v2, 1, v2
	s_waitcnt vmcnt(0) lgkmcnt(0)
	v_mul_lo_u16 v74, 0x87, v61
	s_barrier
	buffer_gl0_inv
	v_lshlrev_b64 v[70:71], 2, v[2:3]
	v_add_co_u32 v70, s0, s8, v70
	v_add_co_ci_u32_e64 v71, s0, s9, v71, s0
	v_cmp_lt_u32_e64 s0, 0x86, v22
	v_mul_f16_sdwa v84, v57, v4 dst_sel:DWORD dst_unused:UNUSED_PAD src0_sel:DWORD src1_sel:WORD_1
	v_mul_f16_sdwa v85, v63, v4 dst_sel:DWORD dst_unused:UNUSED_PAD src0_sel:DWORD src1_sel:WORD_1
	;; [unrolled: 1-line block ×5, first 2 shown]
	v_fmac_f16_e32 v84, v63, v4
	v_mul_f16_sdwa v63, v58, v13 dst_sel:DWORD dst_unused:UNUSED_PAD src0_sel:DWORD src1_sel:WORD_1
	v_fma_f16 v4, v57, v4, -v85
	v_mul_f16_sdwa v57, v55, v13 dst_sel:DWORD dst_unused:UNUSED_PAD src0_sel:DWORD src1_sel:WORD_1
	v_fmac_f16_e32 v86, v64, v5
	v_mul_f16_sdwa v89, v54, v12 dst_sel:DWORD dst_unused:UNUSED_PAD src0_sel:DWORD src1_sel:WORD_1
	v_fma_f16 v5, v59, v5, -v87
	v_fmac_f16_e32 v88, v54, v12
	v_fmac_f16_e32 v63, v55, v13
	v_mul_f16_sdwa v64, v60, v8 dst_sel:DWORD dst_unused:UNUSED_PAD src0_sel:DWORD src1_sel:WORD_1
	v_mul_f16_sdwa v59, v53, v8 dst_sel:DWORD dst_unused:UNUSED_PAD src0_sel:DWORD src1_sel:WORD_1
	;; [unrolled: 1-line block ×3, first 2 shown]
	v_fma_f16 v13, v58, v13, -v57
	v_mul_f16_sdwa v87, v51, v9 dst_sel:DWORD dst_unused:UNUSED_PAD src0_sel:DWORD src1_sel:WORD_1
	v_fmac_f16_e32 v64, v53, v8
	v_fma_f16 v12, v56, v12, -v89
	v_fma_f16 v8, v60, v8, -v59
	v_fmac_f16_e32 v85, v51, v9
	v_mul_f16_sdwa v58, v75, v6 dst_sel:DWORD dst_unused:UNUSED_PAD src0_sel:DWORD src1_sel:WORD_1
	v_mul_f16_sdwa v53, v78, v7 dst_sel:DWORD dst_unused:UNUSED_PAD src0_sel:DWORD src1_sel:WORD_1
	v_mul_f16_sdwa v89, v50, v6 dst_sel:DWORD dst_unused:UNUSED_PAD src0_sel:DWORD src1_sel:WORD_1
	v_mul_f16_sdwa v59, v52, v7 dst_sel:DWORD dst_unused:UNUSED_PAD src0_sel:DWORD src1_sel:WORD_1
	v_fma_f16 v9, v76, v9, -v87
	v_fmac_f16_e32 v58, v50, v6
	v_mul_f16_sdwa v54, v72, v10 dst_sel:DWORD dst_unused:UNUSED_PAD src0_sel:DWORD src1_sel:WORD_1
	v_mul_f16_sdwa v55, v77, v11 dst_sel:DWORD dst_unused:UNUSED_PAD src0_sel:DWORD src1_sel:WORD_1
	v_mul_f16_sdwa v56, v48, v10 dst_sel:DWORD dst_unused:UNUSED_PAD src0_sel:DWORD src1_sel:WORD_1
	v_mul_f16_sdwa v57, v49, v11 dst_sel:DWORD dst_unused:UNUSED_PAD src0_sel:DWORD src1_sel:WORD_1
	v_fmac_f16_e32 v53, v52, v7
	v_fmac_f16_e32 v54, v48, v10
	;; [unrolled: 1-line block ×3, first 2 shown]
	v_add_f16_e32 v49, v84, v86
	v_fma_f16 v10, v72, v10, -v56
	v_fma_f16 v11, v77, v11, -v57
	;; [unrolled: 1-line block ×4, first 2 shown]
	v_add_f16_e32 v50, v79, v4
	v_sub_f16_e32 v52, v4, v5
	v_add_f16_e32 v4, v4, v5
	v_add_f16_e32 v48, v14, v84
	;; [unrolled: 1-line block ×4, first 2 shown]
	v_sub_f16_e32 v72, v12, v13
	v_add_f16_e32 v12, v12, v13
	v_add_f16_e32 v76, v64, v85
	;; [unrolled: 1-line block ×3, first 2 shown]
	v_fmac_f16_e32 v14, -0.5, v49
	v_add_f16_e32 v49, v58, v53
	v_add_f16_e32 v56, v47, v88
	v_sub_f16_e32 v60, v88, v63
	v_add_f16_e32 v77, v80, v8
	v_sub_f16_e32 v78, v8, v9
	v_add_f16_e32 v8, v8, v9
	v_add_f16_e32 v88, v83, v10
	v_sub_f16_e32 v89, v10, v11
	v_add_f16_e32 v10, v10, v11
	v_add_f16_e32 v5, v50, v5
	;; [unrolled: 1-line block ×3, first 2 shown]
	v_fmac_f16_e32 v79, -0.5, v4
	v_sub_f16_e32 v4, v6, v7
	v_add_f16_e32 v6, v6, v7
	v_sub_f16_e32 v51, v84, v86
	v_add_f16_e32 v75, v16, v64
	v_add_f16_e32 v84, v46, v54
	;; [unrolled: 1-line block ×4, first 2 shown]
	v_fmac_f16_e32 v47, -0.5, v57
	v_fmac_f16_e32 v81, -0.5, v12
	;; [unrolled: 1-line block ×5, first 2 shown]
	v_sub_f16_e32 v64, v64, v85
	v_sub_f16_e32 v54, v54, v55
	;; [unrolled: 1-line block ×3, first 2 shown]
	v_fmac_f16_e32 v80, -0.5, v8
	v_fmac_f16_e32 v83, -0.5, v10
	;; [unrolled: 1-line block ×3, first 2 shown]
	v_add_f16_e32 v56, v56, v63
	v_fmamk_f16 v6, v52, 0xbaee, v14
	v_fmamk_f16 v63, v51, 0x3aee, v79
	v_fmac_f16_e32 v14, 0x3aee, v52
	v_fmac_f16_e32 v79, 0xbaee, v51
	v_add_f16_e32 v13, v59, v13
	v_add_f16_e32 v7, v50, v7
	v_fmamk_f16 v49, v72, 0xbaee, v47
	v_fmac_f16_e32 v47, 0x3aee, v72
	v_fmamk_f16 v72, v60, 0x3aee, v81
	v_fmamk_f16 v50, v78, 0xbaee, v16
	;; [unrolled: 1-line block ×3, first 2 shown]
	v_fmac_f16_e32 v46, 0x3aee, v89
	v_fmamk_f16 v52, v4, 0xbaee, v15
	v_add_f16_e32 v12, v75, v85
	v_add_f16_e32 v9, v77, v9
	;; [unrolled: 1-line block ×5, first 2 shown]
	v_fmac_f16_e32 v81, 0xbaee, v60
	v_fmac_f16_e32 v16, 0x3aee, v78
	v_fmamk_f16 v75, v64, 0x3aee, v80
	v_fmac_f16_e32 v80, 0xbaee, v64
	v_fmamk_f16 v64, v54, 0x3aee, v83
	v_fmac_f16_e32 v83, 0xbaee, v54
	v_fmac_f16_e32 v15, 0x3aee, v4
	v_fmamk_f16 v4, v58, 0x3aee, v82
	v_fmac_f16_e32 v82, 0xbaee, v58
	ds_write_b16 v68, v48
	ds_write_b16 v68, v6 offset:90
	ds_write_b16 v68, v14 offset:180
	ds_write_b16 v17, v56
	ds_write_b16 v17, v49 offset:90
	ds_write_b16 v17, v47 offset:180
	;; [unrolled: 3-line block ×5, first 2 shown]
	s_waitcnt lgkmcnt(0)
	s_barrier
	buffer_gl0_inv
	ds_read_u16 v46, v35
	ds_read_u16 v59, v35 offset:2430
	ds_read_u16 v57, v35 offset:2916
	;; [unrolled: 1-line block ×9, first 2 shown]
	ds_read_u16 v48, v42
	ds_read_u16 v50, v43
	;; [unrolled: 1-line block ×4, first 2 shown]
	ds_read_u16 v54, v35 offset:6804
	s_waitcnt lgkmcnt(0)
	s_barrier
	buffer_gl0_inv
	ds_write_b16 v68, v5
	ds_write_b16 v68, v63 offset:90
	ds_write_b16 v68, v79 offset:180
	ds_write_b16 v17, v13
	ds_write_b16 v17, v72 offset:90
	ds_write_b16 v17, v81 offset:180
	;; [unrolled: 3-line block ×5, first 2 shown]
	v_mul_lo_u16 v5, 0x87, v62
	v_sub_nc_u16 v4, v31, v74
	v_lshrrev_b32_e32 v65, 22, v73
	v_mul_u32_u24_sdwa v8, v34, v69 dst_sel:DWORD dst_unused:UNUSED_PAD src0_sel:WORD_0 src1_sel:DWORD
	s_waitcnt lgkmcnt(0)
	v_sub_nc_u16 v5, v32, v5
	s_barrier
	buffer_gl0_inv
	global_load_dwordx2 v[6:7], v[70:71], off offset:520
	v_lshlrev_b32_sdwa v9, v44, v4 dst_sel:DWORD dst_unused:UNUSED_PAD src0_sel:DWORD src1_sel:WORD_0
	v_mul_lo_u16 v10, 0x87, v65
	v_lshrrev_b32_e32 v66, 22, v8
	v_lshlrev_b32_sdwa v8, v44, v5 dst_sel:DWORD dst_unused:UNUSED_PAD src0_sel:DWORD src1_sel:WORD_0
	v_mov_b32_e32 v17, 0x43a3
	global_load_dwordx2 v[14:15], v9, s[8:9] offset:520
	v_sub_nc_u16 v63, v33, v10
	v_add_nc_u32_e32 v16, 0xffffff5e, v22
	global_load_dwordx2 v[12:13], v8, s[8:9] offset:520
	v_mul_lo_u16 v9, 0x87, v66
	v_cndmask_b32_e64 v68, 0, 0x32a, s0
	v_lshlrev_b32_sdwa v8, v44, v63 dst_sel:DWORD dst_unused:UNUSED_PAD src0_sel:DWORD src1_sel:WORD_0
	v_cmp_gt_u32_e64 s0, 0xa2, v22
	v_mul_u32_u24_sdwa v69, v33, v17 dst_sel:DWORD dst_unused:UNUSED_PAD src0_sel:WORD_0 src1_sel:DWORD
	v_sub_nc_u16 v64, v34, v9
	v_add3_u32 v72, 0, v68, v2
	global_load_dwordx2 v[10:11], v8, s[8:9] offset:520
	v_cndmask_b32_e64 v16, v16, v31, s0
	v_lshrrev_b32_e32 v71, 16, v69
	v_lshlrev_b32_sdwa v8, v44, v64 dst_sel:DWORD dst_unused:UNUSED_PAD src0_sel:DWORD src1_sel:WORD_0
	v_lshlrev_b32_e32 v2, 1, v22
	v_mul_u32_u24_sdwa v70, v34, v17 dst_sel:DWORD dst_unused:UNUSED_PAD src0_sel:WORD_0 src1_sel:DWORD
	v_mov_b32_e32 v17, v3
	v_mov_b32_e32 v67, v3
	global_load_dwordx2 v[8:9], v8, s[8:9] offset:520
	v_lshlrev_b32_e32 v16, 1, v16
	v_mul_u32_u24_e32 v75, 0x32a, v66
	v_sub_nc_u16 v76, v33, v71
	v_add_nc_u32_e32 v66, 0xa2, v2
	v_lshrrev_b32_e32 v70, 16, v70
	v_mul_u32_u24_e32 v73, 0x32a, v61
	v_mul_u32_u24_e32 v74, 0x32a, v62
	v_lshlrev_b64 v[61:62], 2, v[16:17]
	v_lshrrev_b16 v17, 1, v76
	v_lshlrev_b32_sdwa v79, v45, v63 dst_sel:DWORD dst_unused:UNUSED_PAD src0_sel:DWORD src1_sel:WORD_0
	v_lshlrev_b32_sdwa v80, v45, v64 dst_sel:DWORD dst_unused:UNUSED_PAD src0_sel:DWORD src1_sel:WORD_0
	v_lshlrev_b64 v[63:64], 2, v[66:67]
	ds_read_u16 v67, v35 offset:2430
	v_sub_nc_u16 v77, v34, v70
	v_add_nc_u16 v17, v17, v71
	ds_read_u16 v71, v35 offset:4860
	v_lshlrev_b64 v[68:69], 2, v[2:3]
	v_mul_u32_u24_e32 v65, 0x32a, v65
	v_lshrrev_b16 v76, 1, v77
	v_add_co_u32 v61, s0, s8, v61
	v_lshlrev_b32_sdwa v77, v45, v4 dst_sel:DWORD dst_unused:UNUSED_PAD src0_sel:DWORD src1_sel:WORD_0
	v_lshlrev_b32_sdwa v78, v45, v5 dst_sel:DWORD dst_unused:UNUSED_PAD src0_sel:DWORD src1_sel:WORD_0
	v_add_nc_u16 v70, v76, v70
	v_add_co_ci_u32_e64 v62, s0, s9, v62, s0
	v_add_co_u32 v4, s0, s8, v68
	v_add_co_ci_u32_e64 v5, s0, s9, v69, s0
	v_add3_u32 v66, 0, v73, v77
	v_add3_u32 v68, 0, v74, v78
	v_lshrrev_b16 v69, 8, v70
	v_add3_u32 v65, 0, v65, v79
	v_add3_u32 v70, 0, v75, v80
	ds_read_u16 v74, v35 offset:5346
	ds_read_u16 v75, v35 offset:2916
	;; [unrolled: 1-line block ×8, first 2 shown]
	ds_read_u16 v82, v42
	ds_read_u16 v83, v43
	;; [unrolled: 1-line block ×5, first 2 shown]
	v_lshrrev_b16 v17, 8, v17
	v_mul_lo_u16 v69, 0x195, v69
	s_waitcnt vmcnt(0) lgkmcnt(0)
	s_barrier
	buffer_gl0_inv
	v_mul_lo_u16 v73, 0x195, v17
	v_add_nc_u32_e32 v2, 0, v2
	v_mul_f16_sdwa v85, v67, v6 dst_sel:DWORD dst_unused:UNUSED_PAD src0_sel:DWORD src1_sel:WORD_1
	v_mul_f16_sdwa v86, v59, v6 dst_sel:DWORD dst_unused:UNUSED_PAD src0_sel:DWORD src1_sel:WORD_1
	v_fmac_f16_e32 v85, v59, v6
	v_mul_f16_sdwa v59, v71, v7 dst_sel:DWORD dst_unused:UNUSED_PAD src0_sel:DWORD src1_sel:WORD_1
	v_fma_f16 v6, v67, v6, -v86
	v_mul_f16_sdwa v67, v60, v7 dst_sel:DWORD dst_unused:UNUSED_PAD src0_sel:DWORD src1_sel:WORD_1
	v_mul_f16_sdwa v86, v58, v15 dst_sel:DWORD dst_unused:UNUSED_PAD src0_sel:DWORD src1_sel:WORD_1
	v_fmac_f16_e32 v59, v60, v7
	v_mul_f16_sdwa v60, v75, v14 dst_sel:DWORD dst_unused:UNUSED_PAD src0_sel:DWORD src1_sel:WORD_1
	v_fma_f16 v7, v71, v7, -v67
	;; [unrolled: 5-line block ×3, first 2 shown]
	v_mul_f16_sdwa v67, v56, v12 dst_sel:DWORD dst_unused:UNUSED_PAD src0_sel:DWORD src1_sel:WORD_1
	v_fmac_f16_e32 v71, v58, v15
	v_mul_f16_sdwa v58, v79, v13 dst_sel:DWORD dst_unused:UNUSED_PAD src0_sel:DWORD src1_sel:WORD_1
	v_fma_f16 v15, v74, v15, -v86
	v_mul_f16_sdwa v74, v55, v13 dst_sel:DWORD dst_unused:UNUSED_PAD src0_sel:DWORD src1_sel:WORD_1
	v_mul_f16_sdwa v75, v77, v10 dst_sel:DWORD dst_unused:UNUSED_PAD src0_sel:DWORD src1_sel:WORD_1
	v_fmac_f16_e32 v57, v56, v12
	v_mul_f16_sdwa v56, v80, v11 dst_sel:DWORD dst_unused:UNUSED_PAD src0_sel:DWORD src1_sel:WORD_1
	v_fma_f16 v12, v76, v12, -v67
	v_mul_f16_sdwa v67, v52, v11 dst_sel:DWORD dst_unused:UNUSED_PAD src0_sel:DWORD src1_sel:WORD_1
	v_fmac_f16_e32 v58, v55, v13
	v_mul_f16_sdwa v55, v78, v8 dst_sel:DWORD dst_unused:UNUSED_PAD src0_sel:DWORD src1_sel:WORD_1
	v_mul_f16_sdwa v76, v81, v9 dst_sel:DWORD dst_unused:UNUSED_PAD src0_sel:DWORD src1_sel:WORD_1
	;; [unrolled: 1-line block ×3, first 2 shown]
	v_fma_f16 v13, v79, v13, -v74
	v_mul_f16_sdwa v74, v53, v8 dst_sel:DWORD dst_unused:UNUSED_PAD src0_sel:DWORD src1_sel:WORD_1
	v_mul_f16_sdwa v79, v54, v9 dst_sel:DWORD dst_unused:UNUSED_PAD src0_sel:DWORD src1_sel:WORD_1
	v_fmac_f16_e32 v75, v51, v10
	v_fmac_f16_e32 v56, v52, v11
	v_fma_f16 v11, v80, v11, -v67
	v_fmac_f16_e32 v55, v53, v8
	v_fmac_f16_e32 v76, v54, v9
	v_add_f16_e32 v52, v85, v59
	v_add_f16_e32 v53, v84, v6
	v_sub_f16_e32 v67, v6, v7
	v_add_f16_e32 v6, v6, v7
	v_fma_f16 v10, v77, v10, -v86
	v_fma_f16 v8, v78, v8, -v74
	;; [unrolled: 1-line block ×3, first 2 shown]
	v_add_f16_e32 v74, v50, v60
	v_add_f16_e32 v77, v60, v71
	;; [unrolled: 1-line block ×3, first 2 shown]
	v_sub_f16_e32 v79, v14, v15
	v_add_f16_e32 v14, v14, v15
	v_add_f16_e32 v51, v46, v85
	;; [unrolled: 1-line block ×3, first 2 shown]
	v_fmac_f16_e32 v46, -0.5, v52
	v_add_f16_e32 v52, v75, v56
	v_fmac_f16_e32 v84, -0.5, v6
	v_add_f16_e32 v6, v55, v76
	v_sub_f16_e32 v54, v85, v59
	v_sub_f16_e32 v60, v60, v71
	v_add_f16_e32 v85, v82, v12
	v_sub_f16_e32 v86, v12, v13
	v_add_f16_e32 v12, v12, v13
	v_add_f16_e32 v71, v74, v71
	v_sub_f16_e32 v74, v10, v11
	v_fmac_f16_e32 v50, -0.5, v77
	v_sub_f16_e32 v77, v8, v9
	v_add_f16_e32 v15, v78, v15
	v_add_f16_e32 v78, v88, v10
	;; [unrolled: 1-line block ×3, first 2 shown]
	v_fmac_f16_e32 v83, -0.5, v14
	v_add_f16_e32 v14, v87, v8
	v_add_f16_e32 v8, v8, v9
	;; [unrolled: 1-line block ×7, first 2 shown]
	v_fmac_f16_e32 v48, -0.5, v81
	v_fmac_f16_e32 v49, -0.5, v52
	;; [unrolled: 1-line block ×3, first 2 shown]
	v_sub_f16_e32 v57, v57, v58
	v_sub_f16_e32 v75, v75, v56
	;; [unrolled: 1-line block ×3, first 2 shown]
	v_fmac_f16_e32 v82, -0.5, v12
	v_fmac_f16_e32 v88, -0.5, v10
	;; [unrolled: 1-line block ×3, first 2 shown]
	v_fmamk_f16 v8, v67, 0xbaee, v46
	v_fmac_f16_e32 v46, 0x3aee, v67
	v_fmamk_f16 v10, v54, 0x3aee, v84
	v_fmac_f16_e32 v84, 0xbaee, v54
	v_add_f16_e32 v6, v78, v11
	v_fmamk_f16 v11, v79, 0xbaee, v50
	v_add_f16_e32 v58, v80, v58
	v_add_f16_e32 v12, v59, v56
	;; [unrolled: 1-line block ×4, first 2 shown]
	v_fmac_f16_e32 v50, 0x3aee, v79
	v_fmamk_f16 v14, v86, 0xbaee, v48
	v_fmac_f16_e32 v48, 0x3aee, v86
	v_fmamk_f16 v53, v74, 0xbaee, v49
	;; [unrolled: 2-line block ×3, first 2 shown]
	v_fmac_f16_e32 v47, 0x3aee, v77
	ds_write_b16 v72, v51
	v_fmamk_f16 v51, v60, 0x3aee, v83
	v_add_f16_e32 v13, v85, v13
	v_fmac_f16_e32 v83, 0xbaee, v60
	v_fmamk_f16 v56, v57, 0x3aee, v82
	v_fmac_f16_e32 v82, 0xbaee, v57
	v_fmamk_f16 v57, v75, 0x3aee, v88
	;; [unrolled: 2-line block ×3, first 2 shown]
	v_fmac_f16_e32 v87, 0xbaee, v55
	ds_write_b16 v72, v8 offset:270
	ds_write_b16 v72, v46 offset:540
	ds_write_b16 v66, v71
	ds_write_b16 v66, v11 offset:270
	ds_write_b16 v66, v50 offset:540
	ds_write_b16 v68, v58
	;; [unrolled: 3-line block ×4, first 2 shown]
	ds_write_b16 v70, v54 offset:270
	ds_write_b16 v70, v47 offset:540
	s_waitcnt lgkmcnt(0)
	s_barrier
	buffer_gl0_inv
	ds_read_u16 v46, v35
	ds_read_u16 v47, v35 offset:2430
	ds_read_u16 v48, v35 offset:2916
	;; [unrolled: 1-line block ×9, first 2 shown]
	ds_read_u16 v60, v42
	ds_read_u16 v67, v43
	;; [unrolled: 1-line block ×4, first 2 shown]
	ds_read_u16 v75, v35 offset:6804
	s_waitcnt lgkmcnt(0)
	s_barrier
	buffer_gl0_inv
	ds_write_b16 v72, v7
	ds_write_b16 v72, v10 offset:270
	ds_write_b16 v72, v84 offset:540
	ds_write_b16 v66, v15
	ds_write_b16 v66, v51 offset:270
	ds_write_b16 v66, v83 offset:540
	ds_write_b16 v68, v13
	ds_write_b16 v68, v56 offset:270
	ds_write_b16 v68, v82 offset:540
	ds_write_b16 v65, v6
	ds_write_b16 v65, v57 offset:270
	ds_write_b16 v65, v88 offset:540
	ds_write_b16 v70, v9
	ds_write_b16 v70, v59 offset:270
	ds_write_b16 v70, v87 offset:540
	v_sub_nc_u16 v51, v33, v73
	v_sub_nc_u16 v12, v34, v69
	v_add_co_u32 v8, s0, s8, v63
	s_waitcnt lgkmcnt(0)
	v_lshlrev_b32_sdwa v13, v44, v51 dst_sel:DWORD dst_unused:UNUSED_PAD src0_sel:DWORD src1_sel:WORD_0
	v_and_b32_e32 v44, 0xffff, v12
	s_barrier
	buffer_gl0_inv
	global_load_dwordx2 v[6:7], v[4:5], off offset:1600
	v_add_co_ci_u32_e64 v9, s0, s9, v64, s0
	v_lshlrev_b32_e32 v14, 3, v44
	s_clause 0x2
	global_load_dwordx2 v[10:11], v[61:62], off offset:1600
	global_load_dwordx2 v[12:13], v13, s[8:9] offset:1600
	global_load_dwordx2 v[8:9], v[8:9], off offset:1600
	v_mov_b32_e32 v56, 0x97e
	global_load_dwordx2 v[14:15], v14, s[8:9] offset:1600
	v_cmp_lt_u32_e64 s0, 0xa1, v22
	v_lshlrev_b32_sdwa v45, v45, v51 dst_sel:DWORD dst_unused:UNUSED_PAD src0_sel:DWORD src1_sel:WORD_0
	v_mul_u32_u24_sdwa v17, v17, v56 dst_sel:DWORD dst_unused:UNUSED_PAD src0_sel:WORD_0 src1_sel:DWORD
	v_cndmask_b32_e64 v57, 0, 0x97e, s0
	v_add3_u32 v56, 0, v17, v45
	ds_read_u16 v17, v35 offset:4860
	v_add3_u32 v51, 0, v57, v16
	ds_read_u16 v16, v35 offset:2430
	v_lshl_add_u32 v57, v44, 1, 0
	ds_read_u16 v44, v35 offset:2916
	ds_read_u16 v45, v35 offset:5346
	;; [unrolled: 1-line block ×5, first 2 shown]
	ds_read_u16 v63, v35
	ds_read_u16 v64, v35 offset:5832
	ds_read_u16 v65, v35 offset:6318
	ds_read_u16 v66, v39
	ds_read_u16 v68, v38
	ds_read_u16 v69, v35 offset:6804
	ds_read_u16 v70, v43
	ds_read_u16 v72, v42
	s_waitcnt vmcnt(0) lgkmcnt(0)
	s_barrier
	buffer_gl0_inv
	v_mul_f16_sdwa v73, v16, v6 dst_sel:DWORD dst_unused:UNUSED_PAD src0_sel:DWORD src1_sel:WORD_1
	v_mul_f16_sdwa v76, v47, v6 dst_sel:DWORD dst_unused:UNUSED_PAD src0_sel:DWORD src1_sel:WORD_1
	;; [unrolled: 1-line block ×9, first 2 shown]
	v_fmac_f16_e32 v73, v47, v6
	v_mul_f16_sdwa v47, v65, v13 dst_sel:DWORD dst_unused:UNUSED_PAD src0_sel:DWORD src1_sel:WORD_1
	v_fma_f16 v6, v16, v6, -v76
	v_fmac_f16_e32 v77, v55, v7
	v_mul_f16_sdwa v55, v62, v14 dst_sel:DWORD dst_unused:UNUSED_PAD src0_sel:DWORD src1_sel:WORD_1
	v_mul_f16_sdwa v76, v69, v15 dst_sel:DWORD dst_unused:UNUSED_PAD src0_sel:DWORD src1_sel:WORD_1
	;; [unrolled: 1-line block ×4, first 2 shown]
	v_fma_f16 v7, v17, v7, -v78
	v_mul_f16_sdwa v17, v58, v14 dst_sel:DWORD dst_unused:UNUSED_PAD src0_sel:DWORD src1_sel:WORD_1
	v_mul_f16_sdwa v80, v48, v10 dst_sel:DWORD dst_unused:UNUSED_PAD src0_sel:DWORD src1_sel:WORD_1
	;; [unrolled: 1-line block ×6, first 2 shown]
	v_fmac_f16_e32 v79, v48, v10
	v_fmac_f16_e32 v81, v54, v11
	;; [unrolled: 1-line block ×8, first 2 shown]
	v_fma_f16 v12, v61, v12, -v88
	v_fma_f16 v13, v65, v13, -v16
	;; [unrolled: 1-line block ×3, first 2 shown]
	v_add_f16_e32 v17, v73, v77
	v_fma_f16 v10, v44, v10, -v80
	v_fma_f16 v11, v45, v11, -v82
	;; [unrolled: 1-line block ×5, first 2 shown]
	v_add_f16_e32 v50, v79, v81
	v_add_f16_e32 v59, v83, v85
	;; [unrolled: 1-line block ×5, first 2 shown]
	v_sub_f16_e32 v44, v6, v7
	v_add_f16_e32 v45, v63, v6
	v_add_f16_e32 v6, v6, v7
	v_sub_f16_e32 v48, v73, v77
	v_sub_f16_e32 v73, v12, v13
	v_add_f16_e32 v75, v68, v12
	v_add_f16_e32 v12, v12, v13
	v_fmac_f16_e32 v46, -0.5, v17
	v_add_f16_e32 v49, v67, v79
	v_sub_f16_e32 v52, v10, v11
	v_add_f16_e32 v53, v70, v10
	v_add_f16_e32 v10, v10, v11
	v_sub_f16_e32 v54, v79, v81
	v_add_f16_e32 v58, v60, v83
	v_sub_f16_e32 v61, v8, v9
	v_sub_f16_e32 v64, v83, v85
	v_add_f16_e32 v65, v74, v87
	v_add_f16_e32 v79, v71, v55
	v_sub_f16_e32 v82, v14, v15
	v_add_f16_e32 v83, v66, v14
	v_add_f16_e32 v14, v14, v15
	v_fmac_f16_e32 v67, -0.5, v50
	v_fmac_f16_e32 v60, -0.5, v59
	v_fmac_f16_e32 v74, -0.5, v69
	v_fmac_f16_e32 v71, -0.5, v80
	v_add_f16_e32 v62, v72, v8
	v_add_f16_e32 v8, v8, v9
	;; [unrolled: 1-line block ×3, first 2 shown]
	v_fmac_f16_e32 v63, -0.5, v6
	v_fmac_f16_e32 v68, -0.5, v12
	v_fmamk_f16 v12, v44, 0xbaee, v46
	v_fmac_f16_e32 v46, 0x3aee, v44
	v_add_f16_e32 v6, v49, v81
	v_add_f16_e32 v49, v53, v11
	v_fmac_f16_e32 v70, -0.5, v10
	v_add_f16_e32 v10, v58, v85
	v_add_f16_e32 v50, v75, v13
	;; [unrolled: 1-line block ×4, first 2 shown]
	v_fmac_f16_e32 v66, -0.5, v14
	v_fmamk_f16 v13, v52, 0xbaee, v67
	v_fmamk_f16 v14, v61, 0xbaee, v60
	;; [unrolled: 1-line block ×4, first 2 shown]
	v_sub_f16_e32 v78, v87, v47
	v_add_f16_e32 v7, v45, v7
	v_fmac_f16_e32 v72, -0.5, v8
	v_add_f16_e32 v8, v65, v47
	v_fmamk_f16 v58, v48, 0x3aee, v63
	v_fmac_f16_e32 v63, 0xbaee, v48
	v_fmac_f16_e32 v67, 0x3aee, v52
	;; [unrolled: 1-line block ×5, first 2 shown]
	ds_write_b16 v35, v16
	ds_write_b16 v35, v12 offset:810
	ds_write_b16 v35, v46 offset:1620
	ds_write_b16 v51, v6
	ds_write_b16 v51, v13 offset:810
	ds_write_b16 v51, v67 offset:1620
	;; [unrolled: 1-line block ×5, first 2 shown]
	ds_write_b16 v56, v8
	ds_write_b16 v56, v15 offset:810
	ds_write_b16 v56, v74 offset:1620
	;; [unrolled: 1-line block ×5, first 2 shown]
	s_waitcnt lgkmcnt(0)
	s_barrier
	buffer_gl0_inv
	ds_read_u16 v10, v35
	ds_read_u16 v12, v35 offset:2430
	ds_read_u16 v14, v35 offset:2916
	;; [unrolled: 1-line block ×9, first 2 shown]
	ds_read_u16 v13, v42
	ds_read_u16 v11, v43
	;; [unrolled: 1-line block ×4, first 2 shown]
	ds_read_u16 v43, v35 offset:6804
	v_sub_f16_e32 v55, v55, v76
	v_fmamk_f16 v52, v54, 0x3aee, v70
	v_add_f16_e32 v9, v62, v9
	v_fmac_f16_e32 v70, 0xbaee, v54
	v_fmamk_f16 v54, v64, 0x3aee, v72
	v_fmac_f16_e32 v72, 0xbaee, v64
	v_fmamk_f16 v59, v78, 0x3aee, v68
	;; [unrolled: 2-line block ×3, first 2 shown]
	v_fmac_f16_e32 v66, 0xbaee, v55
	s_waitcnt lgkmcnt(0)
	s_barrier
	buffer_gl0_inv
	ds_write_b16 v35, v7
	ds_write_b16 v35, v58 offset:810
	ds_write_b16 v35, v63 offset:1620
	ds_write_b16 v51, v49
	ds_write_b16 v51, v52 offset:810
	ds_write_b16 v51, v70 offset:1620
	;; [unrolled: 1-line block ×5, first 2 shown]
	ds_write_b16 v56, v50
	ds_write_b16 v56, v59 offset:810
	ds_write_b16 v56, v68 offset:1620
	;; [unrolled: 1-line block ×5, first 2 shown]
	s_waitcnt lgkmcnt(0)
	s_barrier
	buffer_gl0_inv
	s_and_saveexec_b32 s0, vcc_lo
	s_cbranch_execz .LBB0_15
; %bb.14:
	v_lshlrev_b32_e32 v2, 1, v34
	v_sub_nc_u32_e32 v67, 0, v41
	v_sub_nc_u32_e32 v68, 0, v40
	v_mad_u64_u32 v[40:41], null, s2, v28, 0
	v_lshlrev_b64 v[6:7], 2, v[2:3]
	v_lshlrev_b32_e32 v2, 1, v33
	v_mad_u64_u32 v[49:50], null, s2, v23, 0
	v_mad_u64_u32 v[51:52], null, s2, v27, 0
	v_add_co_u32 v6, vcc_lo, s8, v6
	v_add_co_ci_u32_e32 v7, vcc_lo, s9, v7, vcc_lo
	v_lshlrev_b64 v[33:34], 2, v[2:3]
	v_add_co_u32 v6, vcc_lo, 0x1000, v6
	v_add_co_ci_u32_e32 v7, vcc_lo, 0, v7, vcc_lo
	v_lshlrev_b32_e32 v2, 1, v32
	v_mad_u64_u32 v[53:54], null, s2, v29, 0
	global_load_dwordx2 v[8:9], v[6:7], off offset:744
	v_add_co_u32 v6, vcc_lo, s8, v33
	v_add_co_ci_u32_e32 v7, vcc_lo, s9, v34, vcc_lo
	v_lshlrev_b64 v[32:33], 2, v[2:3]
	v_add_co_u32 v6, vcc_lo, 0x1000, v6
	v_lshlrev_b32_e32 v2, 1, v31
	v_add_co_ci_u32_e32 v7, vcc_lo, 0, v7, vcc_lo
	v_add_co_u32 v32, vcc_lo, s8, v32
	v_add_co_ci_u32_e32 v33, vcc_lo, s9, v33, vcc_lo
	v_lshlrev_b64 v[2:3], 2, v[2:3]
	v_add_co_u32 v31, vcc_lo, 0x1000, v32
	v_add_co_ci_u32_e32 v32, vcc_lo, 0, v33, vcc_lo
	global_load_dwordx2 v[6:7], v[6:7], off offset:744
	v_add_co_u32 v2, vcc_lo, s8, v2
	global_load_dwordx2 v[31:32], v[31:32], off offset:744
	v_add_co_ci_u32_e32 v3, vcc_lo, s9, v3, vcc_lo
	v_add_co_u32 v2, vcc_lo, 0x1000, v2
	v_mad_u64_u32 v[33:34], null, s2, v22, 0
	v_add_co_ci_u32_e32 v3, vcc_lo, 0, v3, vcc_lo
	v_add_co_u32 v4, vcc_lo, 0x1000, v4
	v_add_co_ci_u32_e32 v5, vcc_lo, 0, v5, vcc_lo
	s_clause 0x1
	global_load_dwordx2 v[2:3], v[2:3], off offset:744
	global_load_dwordx2 v[4:5], v[4:5], off offset:744
	v_add_co_u32 v71, vcc_lo, s12, v0
	v_add_co_ci_u32_e32 v72, vcc_lo, s13, v1, vcc_lo
	v_mad_u64_u32 v[0:1], null, s2, v30, 0
	v_mul_hi_u32 v73, 0x1af83441, v21
	v_mad_u64_u32 v[55:56], null, s2, v20, 0
	v_mad_u64_u32 v[57:58], null, s2, v25, 0
	;; [unrolled: 1-line block ×5, first 2 shown]
	ds_read_u16 v74, v39
	ds_read_u16 v75, v38
	ds_read_u16 v76, v35 offset:6804
	ds_read_u16 v77, v35 offset:6318
	;; [unrolled: 1-line block ×3, first 2 shown]
	ds_read_u16 v79, v35
	v_add_nc_u32_e32 v80, v37, v68
	v_add_nc_u32_e32 v81, v36, v67
	v_mov_b32_e32 v36, v41
	v_mov_b32_e32 v37, v50
	;; [unrolled: 1-line block ×4, first 2 shown]
	v_mad_u64_u32 v[67:68], null, s3, v22, v[34:35]
	v_mov_b32_e32 v41, v56
	v_mad_u64_u32 v[63:64], null, s2, v26, 0
	v_mov_b32_e32 v50, v58
	v_mov_b32_e32 v52, v60
	v_mad_u64_u32 v[22:23], null, s3, v23, v[37:38]
	v_mov_b32_e32 v34, v67
	v_mov_b32_e32 v23, v64
	s_waitcnt vmcnt(1)
	v_mad_u64_u32 v[68:69], null, s3, v30, v[1:2]
	v_lshrrev_b32_e32 v30, 7, v73
	v_mad_u64_u32 v[69:70], null, s3, v28, v[36:37]
	v_mad_u64_u32 v[27:28], null, s3, v27, v[38:39]
	v_mov_b32_e32 v1, v62
	v_mad_u64_u32 v[28:29], null, s3, v29, v[39:40]
	v_mov_b32_e32 v29, v66
	v_mad_u32_u24 v70, 0x97e, v30, v21
	v_mad_u64_u32 v[36:37], null, s3, v20, v[41:42]
	v_mad_u64_u32 v[37:38], null, s3, v25, v[50:51]
	;; [unrolled: 1-line block ×7, first 2 shown]
	v_add_nc_u32_e32 v67, 0x4bf, v70
	v_mov_b32_e32 v1, v68
	v_add_nc_u32_e32 v68, 0x97e, v70
	v_mov_b32_e32 v41, v69
	v_mov_b32_e32 v54, v28
	;; [unrolled: 1-line block ×6, first 2 shown]
	v_mad_u64_u32 v[18:19], null, s2, v67, 0
	v_mad_u64_u32 v[20:21], null, s2, v68, 0
	ds_read_u16 v73, v35 offset:5346
	ds_read_u16 v82, v35 offset:4860
	;; [unrolled: 1-line block ×7, first 2 shown]
	ds_read_u16 v80, v80
	ds_read_u16 v81, v81
	v_mov_b32_e32 v50, v22
	v_mov_b32_e32 v60, v24
	;; [unrolled: 1-line block ×3, first 2 shown]
	v_lshlrev_b64 v[24:25], 2, v[40:41]
	v_lshlrev_b64 v[39:40], 2, v[57:58]
	v_mad_u64_u32 v[57:58], null, s3, v70, v[28:29]
	v_lshlrev_b64 v[22:23], 2, v[33:34]
	v_mov_b32_e32 v52, v27
	v_lshlrev_b64 v[26:27], 2, v[49:50]
	v_lshlrev_b64 v[49:50], 2, v[59:60]
	v_mad_u64_u32 v[58:59], null, s3, v67, v[19:20]
	v_mov_b32_e32 v30, v57
	v_add_co_u32 v22, vcc_lo, v71, v22
	v_lshlrev_b64 v[0:1], 2, v[0:1]
	v_mul_f16_sdwa v41, v43, v9 dst_sel:DWORD dst_unused:UNUSED_PAD src0_sel:DWORD src1_sel:WORD_1
	v_lshlrev_b64 v[28:29], 2, v[29:30]
	v_mov_b32_e32 v19, v58
	v_mul_f16_sdwa v30, v48, v8 dst_sel:DWORD dst_unused:UNUSED_PAD src0_sel:DWORD src1_sel:WORD_1
	s_waitcnt lgkmcnt(6)
	v_mul_f16_sdwa v57, v83, v8 dst_sel:DWORD dst_unused:UNUSED_PAD src0_sel:DWORD src1_sel:WORD_1
	v_mul_f16_sdwa v58, v76, v9 dst_sel:DWORD dst_unused:UNUSED_PAD src0_sel:DWORD src1_sel:WORD_1
	v_mad_u64_u32 v[59:60], null, s3, v68, v[21:22]
	v_add_co_ci_u32_e32 v23, vcc_lo, v72, v23, vcc_lo
	v_add_co_u32 v0, vcc_lo, v71, v0
	v_fma_f16 v30, v8, v83, -v30
	v_fma_f16 v41, v9, v76, -v41
	v_fmac_f16_e32 v57, v48, v8
	v_fmac_f16_e32 v58, v43, v9
	v_mul_f16_sdwa v8, v46, v6 dst_sel:DWORD dst_unused:UNUSED_PAD src0_sel:DWORD src1_sel:WORD_1
	v_mul_f16_sdwa v9, v47, v7 dst_sel:DWORD dst_unused:UNUSED_PAD src0_sel:DWORD src1_sel:WORD_1
	s_waitcnt lgkmcnt(5)
	v_mul_f16_sdwa v43, v84, v6 dst_sel:DWORD dst_unused:UNUSED_PAD src0_sel:DWORD src1_sel:WORD_1
	v_mul_f16_sdwa v48, v77, v7 dst_sel:DWORD dst_unused:UNUSED_PAD src0_sel:DWORD src1_sel:WORD_1
	v_add_co_ci_u32_e32 v1, vcc_lo, v72, v1, vcc_lo
	v_lshlrev_b64 v[33:34], 2, v[51:52]
	v_add_co_u32 v24, vcc_lo, v71, v24
	v_mov_b32_e32 v56, v36
	v_add_co_ci_u32_e32 v25, vcc_lo, v72, v25, vcc_lo
	v_lshlrev_b64 v[35:36], 2, v[53:54]
	v_lshlrev_b64 v[51:52], 2, v[61:62]
	v_add_co_u32 v26, vcc_lo, v71, v26
	v_mov_b32_e32 v21, v59
	v_add_f16_e32 v59, v30, v41
	v_sub_f16_e32 v60, v57, v58
	v_add_f16_e32 v61, v74, v30
	v_add_f16_e32 v62, v57, v58
	;; [unrolled: 1-line block ×3, first 2 shown]
	v_fma_f16 v8, v6, v84, -v8
	v_fma_f16 v9, v7, v77, -v9
	v_fmac_f16_e32 v43, v46, v6
	v_fmac_f16_e32 v48, v47, v7
	v_mul_f16_sdwa v6, v44, v31 dst_sel:DWORD dst_unused:UNUSED_PAD src0_sel:DWORD src1_sel:WORD_1
	v_mul_f16_sdwa v7, v45, v32 dst_sel:DWORD dst_unused:UNUSED_PAD src0_sel:DWORD src1_sel:WORD_1
	s_waitcnt lgkmcnt(4)
	v_mul_f16_sdwa v46, v85, v31 dst_sel:DWORD dst_unused:UNUSED_PAD src0_sel:DWORD src1_sel:WORD_1
	v_mul_f16_sdwa v47, v78, v32 dst_sel:DWORD dst_unused:UNUSED_PAD src0_sel:DWORD src1_sel:WORD_1
	v_add_co_ci_u32_e32 v27, vcc_lo, v72, v27, vcc_lo
	v_lshlrev_b64 v[37:38], 2, v[55:56]
	v_add_co_u32 v33, vcc_lo, v71, v33
	v_lshlrev_b64 v[53:54], 2, v[63:64]
	v_lshlrev_b64 v[55:56], 2, v[65:66]
	v_add_co_ci_u32_e32 v34, vcc_lo, v72, v34, vcc_lo
	v_sub_f16_e32 v30, v30, v41
	v_fma_f16 v59, -0.5, v59, v74
	v_add_f16_e32 v41, v61, v41
	v_fma_f16 v42, -0.5, v62, v42
	v_add_f16_e32 v57, v57, v58
	v_add_f16_e32 v58, v8, v9
	v_sub_f16_e32 v61, v43, v48
	v_add_f16_e32 v63, v43, v48
	v_add_f16_e32 v43, v17, v43
	v_fma_f16 v6, v31, v85, -v6
	v_fma_f16 v7, v32, v78, -v7
	v_fmac_f16_e32 v46, v44, v31
	v_fmac_f16_e32 v47, v45, v32
	v_mul_f16_sdwa v31, v14, v2 dst_sel:DWORD dst_unused:UNUSED_PAD src0_sel:DWORD src1_sel:WORD_1
	v_mul_f16_sdwa v32, v16, v3 dst_sel:DWORD dst_unused:UNUSED_PAD src0_sel:DWORD src1_sel:WORD_1
	s_waitcnt lgkmcnt(3)
	v_mul_f16_sdwa v44, v86, v2 dst_sel:DWORD dst_unused:UNUSED_PAD src0_sel:DWORD src1_sel:WORD_1
	v_mul_f16_sdwa v45, v73, v3 dst_sel:DWORD dst_unused:UNUSED_PAD src0_sel:DWORD src1_sel:WORD_1
	s_waitcnt vmcnt(0)
	v_mul_f16_sdwa v64, v12, v4 dst_sel:DWORD dst_unused:UNUSED_PAD src0_sel:DWORD src1_sel:WORD_1
	v_mul_f16_sdwa v65, v15, v5 dst_sel:DWORD dst_unused:UNUSED_PAD src0_sel:DWORD src1_sel:WORD_1
	s_waitcnt lgkmcnt(2)
	v_mul_f16_sdwa v66, v87, v4 dst_sel:DWORD dst_unused:UNUSED_PAD src0_sel:DWORD src1_sel:WORD_1
	v_mul_f16_sdwa v67, v82, v5 dst_sel:DWORD dst_unused:UNUSED_PAD src0_sel:DWORD src1_sel:WORD_1
	v_add_co_u32 v35, vcc_lo, v71, v35
	v_add_co_ci_u32_e32 v36, vcc_lo, v72, v36, vcc_lo
	v_add_f16_e32 v62, v75, v8
	v_add_co_u32 v37, vcc_lo, v71, v37
	v_sub_f16_e32 v8, v8, v9
	v_fmamk_f16 v68, v60, 0xbaee, v59
	v_fmac_f16_e32 v59, 0x3aee, v60
	v_fmamk_f16 v60, v30, 0x3aee, v42
	v_fmac_f16_e32 v42, 0xbaee, v30
	v_fma_f16 v30, -0.5, v58, v75
	v_fma_f16 v17, -0.5, v63, v17
	v_add_f16_e32 v43, v43, v48
	v_add_f16_e32 v48, v6, v7
	v_sub_f16_e32 v58, v46, v47
	v_add_f16_e32 v63, v46, v47
	v_add_f16_e32 v46, v13, v46
	v_fma_f16 v31, v2, v86, -v31
	v_fma_f16 v32, v3, v73, -v32
	v_fmac_f16_e32 v44, v14, v2
	v_fmac_f16_e32 v45, v16, v3
	v_fma_f16 v2, v4, v87, -v64
	v_fma_f16 v3, v5, v82, -v65
	v_fmac_f16_e32 v66, v12, v4
	v_fmac_f16_e32 v67, v15, v5
	v_add_co_ci_u32_e32 v38, vcc_lo, v72, v38, vcc_lo
	v_add_co_u32 v39, vcc_lo, v71, v39
	v_add_f16_e32 v9, v62, v9
	s_waitcnt lgkmcnt(1)
	v_add_f16_e32 v62, v80, v6
	v_add_co_ci_u32_e32 v40, vcc_lo, v72, v40, vcc_lo
	v_add_co_u32 v49, vcc_lo, v71, v49
	v_sub_f16_e32 v6, v6, v7
	v_pack_b32_f16 v4, v57, v41
	v_fmamk_f16 v5, v61, 0xbaee, v30
	v_fmac_f16_e32 v30, 0x3aee, v61
	v_fmamk_f16 v12, v8, 0x3aee, v17
	v_fmac_f16_e32 v17, 0xbaee, v8
	v_fma_f16 v8, -0.5, v48, v80
	v_fma_f16 v13, -0.5, v63, v13
	v_add_f16_e32 v14, v46, v47
	v_add_f16_e32 v15, v31, v32
	s_waitcnt lgkmcnt(0)
	v_add_f16_e32 v41, v81, v31
	v_add_f16_e32 v47, v2, v3
	;; [unrolled: 1-line block ×3, first 2 shown]
	v_add_co_ci_u32_e32 v50, vcc_lo, v72, v50, vcc_lo
	v_add_co_u32 v51, vcc_lo, v71, v51
	v_add_f16_e32 v7, v62, v7
	v_sub_f16_e32 v16, v44, v45
	v_add_f16_e32 v46, v44, v45
	v_add_f16_e32 v44, v11, v44
	;; [unrolled: 1-line block ×4, first 2 shown]
	v_add_co_ci_u32_e32 v52, vcc_lo, v72, v52, vcc_lo
	v_sub_f16_e32 v48, v66, v67
	v_sub_f16_e32 v2, v2, v3
	v_pack_b32_f16 v42, v42, v59
	v_fmamk_f16 v59, v58, 0xbaee, v8
	v_fmac_f16_e32 v8, 0x3aee, v58
	v_fmamk_f16 v58, v6, 0x3aee, v13
	v_fmac_f16_e32 v13, 0xbaee, v6
	v_fma_f16 v6, -0.5, v15, v81
	v_add_f16_e32 v15, v41, v32
	v_fma_f16 v41, -0.5, v47, v79
	v_fma_f16 v10, -0.5, v61, v10
	v_add_co_u32 v53, vcc_lo, v71, v53
	v_add_co_ci_u32_e32 v54, vcc_lo, v72, v54, vcc_lo
	v_sub_f16_e32 v31, v31, v32
	v_fma_f16 v11, -0.5, v46, v11
	v_add_f16_e32 v32, v44, v45
	v_add_f16_e32 v3, v57, v3
	;; [unrolled: 1-line block ×3, first 2 shown]
	v_add_co_u32 v55, vcc_lo, v71, v55
	v_lshlrev_b64 v[18:19], 2, v[18:19]
	v_pack_b32_f16 v7, v14, v7
	v_pack_b32_f16 v14, v17, v30
	v_fmamk_f16 v17, v48, 0xbaee, v41
	v_fmac_f16_e32 v41, 0x3aee, v48
	v_fmamk_f16 v30, v2, 0x3aee, v10
	v_fmac_f16_e32 v10, 0xbaee, v2
	v_add_co_ci_u32_e32 v56, vcc_lo, v72, v56, vcc_lo
	v_lshlrev_b64 v[20:21], 2, v[20:21]
	v_add_co_u32 v28, vcc_lo, v71, v28
	v_pack_b32_f16 v5, v12, v5
	v_fmamk_f16 v12, v16, 0xbaee, v6
	v_fmac_f16_e32 v6, 0x3aee, v16
	v_fmamk_f16 v16, v31, 0x3aee, v11
	v_fmac_f16_e32 v11, 0xbaee, v31
	v_pack_b32_f16 v2, v44, v3
	v_add_co_ci_u32_e32 v29, vcc_lo, v72, v29, vcc_lo
	v_add_co_u32 v18, vcc_lo, v71, v18
	v_pack_b32_f16 v10, v10, v41
	v_pack_b32_f16 v3, v32, v15
	;; [unrolled: 1-line block ×3, first 2 shown]
	v_add_co_ci_u32_e32 v19, vcc_lo, v72, v19, vcc_lo
	v_add_co_u32 v20, vcc_lo, v71, v20
	global_store_dword v[22:23], v2, off
	v_pack_b32_f16 v2, v11, v6
	v_pack_b32_f16 v6, v16, v12
	v_add_co_ci_u32_e32 v21, vcc_lo, v72, v21, vcc_lo
	v_pack_b32_f16 v9, v43, v9
	v_pack_b32_f16 v43, v60, v68
	;; [unrolled: 1-line block ×4, first 2 shown]
	global_store_dword v[0:1], v10, off
	global_store_dword v[24:25], v15, off
	;; [unrolled: 1-line block ×14, first 2 shown]
.LBB0_15:
	s_endpgm
	.section	.rodata,"a",@progbits
	.p2align	6, 0x0
	.amdhsa_kernel fft_rtc_back_len3645_factors_5_3_3_3_3_3_3_wgs_243_tpt_243_halfLds_half_ip_CI_sbrr_dirReg
		.amdhsa_group_segment_fixed_size 0
		.amdhsa_private_segment_fixed_size 0
		.amdhsa_kernarg_size 88
		.amdhsa_user_sgpr_count 6
		.amdhsa_user_sgpr_private_segment_buffer 1
		.amdhsa_user_sgpr_dispatch_ptr 0
		.amdhsa_user_sgpr_queue_ptr 0
		.amdhsa_user_sgpr_kernarg_segment_ptr 1
		.amdhsa_user_sgpr_dispatch_id 0
		.amdhsa_user_sgpr_flat_scratch_init 0
		.amdhsa_user_sgpr_private_segment_size 0
		.amdhsa_wavefront_size32 1
		.amdhsa_uses_dynamic_stack 0
		.amdhsa_system_sgpr_private_segment_wavefront_offset 0
		.amdhsa_system_sgpr_workgroup_id_x 1
		.amdhsa_system_sgpr_workgroup_id_y 0
		.amdhsa_system_sgpr_workgroup_id_z 0
		.amdhsa_system_sgpr_workgroup_info 0
		.amdhsa_system_vgpr_workitem_id 0
		.amdhsa_next_free_vgpr 90
		.amdhsa_next_free_sgpr 23
		.amdhsa_reserve_vcc 1
		.amdhsa_reserve_flat_scratch 0
		.amdhsa_float_round_mode_32 0
		.amdhsa_float_round_mode_16_64 0
		.amdhsa_float_denorm_mode_32 3
		.amdhsa_float_denorm_mode_16_64 3
		.amdhsa_dx10_clamp 1
		.amdhsa_ieee_mode 1
		.amdhsa_fp16_overflow 0
		.amdhsa_workgroup_processor_mode 1
		.amdhsa_memory_ordered 1
		.amdhsa_forward_progress 0
		.amdhsa_shared_vgpr_count 0
		.amdhsa_exception_fp_ieee_invalid_op 0
		.amdhsa_exception_fp_denorm_src 0
		.amdhsa_exception_fp_ieee_div_zero 0
		.amdhsa_exception_fp_ieee_overflow 0
		.amdhsa_exception_fp_ieee_underflow 0
		.amdhsa_exception_fp_ieee_inexact 0
		.amdhsa_exception_int_div_zero 0
	.end_amdhsa_kernel
	.text
.Lfunc_end0:
	.size	fft_rtc_back_len3645_factors_5_3_3_3_3_3_3_wgs_243_tpt_243_halfLds_half_ip_CI_sbrr_dirReg, .Lfunc_end0-fft_rtc_back_len3645_factors_5_3_3_3_3_3_3_wgs_243_tpt_243_halfLds_half_ip_CI_sbrr_dirReg
                                        ; -- End function
	.section	.AMDGPU.csdata,"",@progbits
; Kernel info:
; codeLenInByte = 13600
; NumSgprs: 25
; NumVgprs: 90
; ScratchSize: 0
; MemoryBound: 0
; FloatMode: 240
; IeeeMode: 1
; LDSByteSize: 0 bytes/workgroup (compile time only)
; SGPRBlocks: 3
; VGPRBlocks: 11
; NumSGPRsForWavesPerEU: 25
; NumVGPRsForWavesPerEU: 90
; Occupancy: 10
; WaveLimiterHint : 1
; COMPUTE_PGM_RSRC2:SCRATCH_EN: 0
; COMPUTE_PGM_RSRC2:USER_SGPR: 6
; COMPUTE_PGM_RSRC2:TRAP_HANDLER: 0
; COMPUTE_PGM_RSRC2:TGID_X_EN: 1
; COMPUTE_PGM_RSRC2:TGID_Y_EN: 0
; COMPUTE_PGM_RSRC2:TGID_Z_EN: 0
; COMPUTE_PGM_RSRC2:TIDIG_COMP_CNT: 0
	.text
	.p2alignl 6, 3214868480
	.fill 48, 4, 3214868480
	.type	__hip_cuid_6af0bd3af62afbd4,@object ; @__hip_cuid_6af0bd3af62afbd4
	.section	.bss,"aw",@nobits
	.globl	__hip_cuid_6af0bd3af62afbd4
__hip_cuid_6af0bd3af62afbd4:
	.byte	0                               ; 0x0
	.size	__hip_cuid_6af0bd3af62afbd4, 1

	.ident	"AMD clang version 19.0.0git (https://github.com/RadeonOpenCompute/llvm-project roc-6.4.0 25133 c7fe45cf4b819c5991fe208aaa96edf142730f1d)"
	.section	".note.GNU-stack","",@progbits
	.addrsig
	.addrsig_sym __hip_cuid_6af0bd3af62afbd4
	.amdgpu_metadata
---
amdhsa.kernels:
  - .args:
      - .actual_access:  read_only
        .address_space:  global
        .offset:         0
        .size:           8
        .value_kind:     global_buffer
      - .offset:         8
        .size:           8
        .value_kind:     by_value
      - .actual_access:  read_only
        .address_space:  global
        .offset:         16
        .size:           8
        .value_kind:     global_buffer
      - .actual_access:  read_only
        .address_space:  global
        .offset:         24
        .size:           8
        .value_kind:     global_buffer
      - .offset:         32
        .size:           8
        .value_kind:     by_value
      - .actual_access:  read_only
        .address_space:  global
        .offset:         40
        .size:           8
        .value_kind:     global_buffer
      - .actual_access:  read_only
        .address_space:  global
        .offset:         48
        .size:           8
        .value_kind:     global_buffer
      - .offset:         56
        .size:           4
        .value_kind:     by_value
      - .actual_access:  read_only
        .address_space:  global
        .offset:         64
        .size:           8
        .value_kind:     global_buffer
      - .actual_access:  read_only
        .address_space:  global
        .offset:         72
        .size:           8
        .value_kind:     global_buffer
      - .address_space:  global
        .offset:         80
        .size:           8
        .value_kind:     global_buffer
    .group_segment_fixed_size: 0
    .kernarg_segment_align: 8
    .kernarg_segment_size: 88
    .language:       OpenCL C
    .language_version:
      - 2
      - 0
    .max_flat_workgroup_size: 243
    .name:           fft_rtc_back_len3645_factors_5_3_3_3_3_3_3_wgs_243_tpt_243_halfLds_half_ip_CI_sbrr_dirReg
    .private_segment_fixed_size: 0
    .sgpr_count:     25
    .sgpr_spill_count: 0
    .symbol:         fft_rtc_back_len3645_factors_5_3_3_3_3_3_3_wgs_243_tpt_243_halfLds_half_ip_CI_sbrr_dirReg.kd
    .uniform_work_group_size: 1
    .uses_dynamic_stack: false
    .vgpr_count:     90
    .vgpr_spill_count: 0
    .wavefront_size: 32
    .workgroup_processor_mode: 1
amdhsa.target:   amdgcn-amd-amdhsa--gfx1030
amdhsa.version:
  - 1
  - 2
...

	.end_amdgpu_metadata
